;; amdgpu-corpus repo=ROCm/rocFFT kind=compiled arch=gfx1201 opt=O3
	.text
	.amdgcn_target "amdgcn-amd-amdhsa--gfx1201"
	.amdhsa_code_object_version 6
	.protected	fft_rtc_back_len1183_factors_7_13_13_wgs_182_tpt_91_halfLds_sp_op_CI_CI_sbrr_dirReg ; -- Begin function fft_rtc_back_len1183_factors_7_13_13_wgs_182_tpt_91_halfLds_sp_op_CI_CI_sbrr_dirReg
	.globl	fft_rtc_back_len1183_factors_7_13_13_wgs_182_tpt_91_halfLds_sp_op_CI_CI_sbrr_dirReg
	.p2align	8
	.type	fft_rtc_back_len1183_factors_7_13_13_wgs_182_tpt_91_halfLds_sp_op_CI_CI_sbrr_dirReg,@function
fft_rtc_back_len1183_factors_7_13_13_wgs_182_tpt_91_halfLds_sp_op_CI_CI_sbrr_dirReg: ; @fft_rtc_back_len1183_factors_7_13_13_wgs_182_tpt_91_halfLds_sp_op_CI_CI_sbrr_dirReg
; %bb.0:
	s_clause 0x2
	s_load_b128 s[12:15], s[0:1], 0x18
	s_load_b128 s[8:11], s[0:1], 0x0
	;; [unrolled: 1-line block ×3, first 2 shown]
	v_mul_u32_u24_e32 v1, 0x2d1, v0
	v_mov_b32_e32 v5, 0
	v_mov_b32_e32 v27, 0
	;; [unrolled: 1-line block ×3, first 2 shown]
	s_wait_kmcnt 0x0
	s_load_b64 s[18:19], s[12:13], 0x0
	s_load_b64 s[16:17], s[14:15], 0x0
	v_lshrrev_b32_e32 v36, 16, v1
	v_cmp_lt_u64_e64 s2, s[10:11], 2
	v_mov_b32_e32 v8, v5
	s_delay_alu instid0(VALU_DEP_3) | instskip(NEXT) | instid1(VALU_DEP_3)
	v_lshl_add_u32 v7, ttmp9, 1, v36
	s_and_b32 vcc_lo, exec_lo, s2
	s_cbranch_vccnz .LBB0_8
; %bb.1:
	s_load_b64 s[2:3], s[0:1], 0x10
	v_mov_b32_e32 v27, 0
	v_mov_b32_e32 v28, 0
	s_delay_alu instid0(VALU_DEP_2)
	v_mov_b32_e32 v1, v27
	s_add_nc_u64 s[20:21], s[14:15], 8
	s_add_nc_u64 s[22:23], s[12:13], 8
	s_mov_b64 s[24:25], 1
	v_mov_b32_e32 v2, v28
	s_wait_kmcnt 0x0
	s_add_nc_u64 s[26:27], s[2:3], 8
	s_mov_b32 s3, 0
.LBB0_2:                                ; =>This Inner Loop Header: Depth=1
	s_load_b64 s[28:29], s[26:27], 0x0
                                        ; implicit-def: $vgpr3_vgpr4
	s_mov_b32 s2, exec_lo
	s_wait_kmcnt 0x0
	v_or_b32_e32 v6, s29, v8
	s_delay_alu instid0(VALU_DEP_1)
	v_cmpx_ne_u64_e32 0, v[5:6]
	s_wait_alu 0xfffe
	s_xor_b32 s30, exec_lo, s2
	s_cbranch_execz .LBB0_4
; %bb.3:                                ;   in Loop: Header=BB0_2 Depth=1
	s_cvt_f32_u32 s2, s28
	s_cvt_f32_u32 s31, s29
	s_sub_nc_u64 s[36:37], 0, s[28:29]
	s_wait_alu 0xfffe
	s_delay_alu instid0(SALU_CYCLE_1) | instskip(SKIP_1) | instid1(SALU_CYCLE_2)
	s_fmamk_f32 s2, s31, 0x4f800000, s2
	s_wait_alu 0xfffe
	v_s_rcp_f32 s2, s2
	s_delay_alu instid0(TRANS32_DEP_1) | instskip(SKIP_1) | instid1(SALU_CYCLE_2)
	s_mul_f32 s2, s2, 0x5f7ffffc
	s_wait_alu 0xfffe
	s_mul_f32 s31, s2, 0x2f800000
	s_wait_alu 0xfffe
	s_delay_alu instid0(SALU_CYCLE_2) | instskip(SKIP_1) | instid1(SALU_CYCLE_2)
	s_trunc_f32 s31, s31
	s_wait_alu 0xfffe
	s_fmamk_f32 s2, s31, 0xcf800000, s2
	s_cvt_u32_f32 s35, s31
	s_wait_alu 0xfffe
	s_delay_alu instid0(SALU_CYCLE_1) | instskip(SKIP_1) | instid1(SALU_CYCLE_2)
	s_cvt_u32_f32 s34, s2
	s_wait_alu 0xfffe
	s_mul_u64 s[38:39], s[36:37], s[34:35]
	s_wait_alu 0xfffe
	s_mul_hi_u32 s41, s34, s39
	s_mul_i32 s40, s34, s39
	s_mul_hi_u32 s2, s34, s38
	s_mul_i32 s33, s35, s38
	s_wait_alu 0xfffe
	s_add_nc_u64 s[40:41], s[2:3], s[40:41]
	s_mul_hi_u32 s31, s35, s38
	s_mul_hi_u32 s42, s35, s39
	s_add_co_u32 s2, s40, s33
	s_wait_alu 0xfffe
	s_add_co_ci_u32 s2, s41, s31
	s_mul_i32 s38, s35, s39
	s_add_co_ci_u32 s39, s42, 0
	s_wait_alu 0xfffe
	s_add_nc_u64 s[38:39], s[2:3], s[38:39]
	s_wait_alu 0xfffe
	v_add_co_u32 v3, s2, s34, s38
	s_delay_alu instid0(VALU_DEP_1) | instskip(SKIP_1) | instid1(VALU_DEP_1)
	s_cmp_lg_u32 s2, 0
	s_add_co_ci_u32 s35, s35, s39
	v_readfirstlane_b32 s34, v3
	s_wait_alu 0xfffe
	s_delay_alu instid0(VALU_DEP_1)
	s_mul_u64 s[36:37], s[36:37], s[34:35]
	s_wait_alu 0xfffe
	s_mul_hi_u32 s39, s34, s37
	s_mul_i32 s38, s34, s37
	s_mul_hi_u32 s2, s34, s36
	s_mul_i32 s33, s35, s36
	s_wait_alu 0xfffe
	s_add_nc_u64 s[38:39], s[2:3], s[38:39]
	s_mul_hi_u32 s31, s35, s36
	s_mul_hi_u32 s34, s35, s37
	s_wait_alu 0xfffe
	s_add_co_u32 s2, s38, s33
	s_add_co_ci_u32 s2, s39, s31
	s_mul_i32 s36, s35, s37
	s_add_co_ci_u32 s37, s34, 0
	s_wait_alu 0xfffe
	s_add_nc_u64 s[36:37], s[2:3], s[36:37]
	s_wait_alu 0xfffe
	v_add_co_u32 v6, s2, v3, s36
	s_delay_alu instid0(VALU_DEP_1) | instskip(SKIP_1) | instid1(VALU_DEP_1)
	s_cmp_lg_u32 s2, 0
	s_add_co_ci_u32 s2, s35, s37
	v_mul_hi_u32 v13, v7, v6
	s_wait_alu 0xfffe
	v_mad_co_u64_u32 v[3:4], null, v7, s2, 0
	v_mad_co_u64_u32 v[9:10], null, v8, v6, 0
	;; [unrolled: 1-line block ×3, first 2 shown]
	s_delay_alu instid0(VALU_DEP_3) | instskip(SKIP_1) | instid1(VALU_DEP_4)
	v_add_co_u32 v3, vcc_lo, v13, v3
	s_wait_alu 0xfffd
	v_add_co_ci_u32_e32 v4, vcc_lo, 0, v4, vcc_lo
	s_delay_alu instid0(VALU_DEP_2) | instskip(SKIP_1) | instid1(VALU_DEP_2)
	v_add_co_u32 v3, vcc_lo, v3, v9
	s_wait_alu 0xfffd
	v_add_co_ci_u32_e32 v3, vcc_lo, v4, v10, vcc_lo
	s_wait_alu 0xfffd
	v_add_co_ci_u32_e32 v4, vcc_lo, 0, v12, vcc_lo
	s_delay_alu instid0(VALU_DEP_2) | instskip(SKIP_1) | instid1(VALU_DEP_2)
	v_add_co_u32 v6, vcc_lo, v3, v11
	s_wait_alu 0xfffd
	v_add_co_ci_u32_e32 v9, vcc_lo, 0, v4, vcc_lo
	s_delay_alu instid0(VALU_DEP_2) | instskip(SKIP_1) | instid1(VALU_DEP_3)
	v_mul_lo_u32 v10, s29, v6
	v_mad_co_u64_u32 v[3:4], null, s28, v6, 0
	v_mul_lo_u32 v11, s28, v9
	s_delay_alu instid0(VALU_DEP_2) | instskip(NEXT) | instid1(VALU_DEP_2)
	v_sub_co_u32 v3, vcc_lo, v7, v3
	v_add3_u32 v4, v4, v11, v10
	s_delay_alu instid0(VALU_DEP_1) | instskip(SKIP_1) | instid1(VALU_DEP_1)
	v_sub_nc_u32_e32 v10, v8, v4
	s_wait_alu 0xfffd
	v_subrev_co_ci_u32_e64 v10, s2, s29, v10, vcc_lo
	v_add_co_u32 v11, s2, v6, 2
	s_wait_alu 0xf1ff
	v_add_co_ci_u32_e64 v12, s2, 0, v9, s2
	v_sub_co_u32 v13, s2, v3, s28
	v_sub_co_ci_u32_e32 v4, vcc_lo, v8, v4, vcc_lo
	s_wait_alu 0xf1ff
	v_subrev_co_ci_u32_e64 v10, s2, 0, v10, s2
	s_delay_alu instid0(VALU_DEP_3) | instskip(NEXT) | instid1(VALU_DEP_3)
	v_cmp_le_u32_e32 vcc_lo, s28, v13
	v_cmp_eq_u32_e64 s2, s29, v4
	s_wait_alu 0xfffd
	v_cndmask_b32_e64 v13, 0, -1, vcc_lo
	v_cmp_le_u32_e32 vcc_lo, s29, v10
	s_wait_alu 0xfffd
	v_cndmask_b32_e64 v14, 0, -1, vcc_lo
	v_cmp_le_u32_e32 vcc_lo, s28, v3
	;; [unrolled: 3-line block ×3, first 2 shown]
	s_wait_alu 0xfffd
	v_cndmask_b32_e64 v15, 0, -1, vcc_lo
	v_cmp_eq_u32_e32 vcc_lo, s29, v10
	s_wait_alu 0xf1ff
	s_delay_alu instid0(VALU_DEP_2)
	v_cndmask_b32_e64 v3, v15, v3, s2
	s_wait_alu 0xfffd
	v_cndmask_b32_e32 v10, v14, v13, vcc_lo
	v_add_co_u32 v13, vcc_lo, v6, 1
	s_wait_alu 0xfffd
	v_add_co_ci_u32_e32 v14, vcc_lo, 0, v9, vcc_lo
	s_delay_alu instid0(VALU_DEP_3) | instskip(SKIP_1) | instid1(VALU_DEP_2)
	v_cmp_ne_u32_e32 vcc_lo, 0, v10
	s_wait_alu 0xfffd
	v_cndmask_b32_e32 v4, v14, v12, vcc_lo
	v_cndmask_b32_e32 v10, v13, v11, vcc_lo
	v_cmp_ne_u32_e32 vcc_lo, 0, v3
	s_wait_alu 0xfffd
	s_delay_alu instid0(VALU_DEP_2)
	v_dual_cndmask_b32 v4, v9, v4 :: v_dual_cndmask_b32 v3, v6, v10
.LBB0_4:                                ;   in Loop: Header=BB0_2 Depth=1
	s_wait_alu 0xfffe
	s_and_not1_saveexec_b32 s2, s30
	s_cbranch_execz .LBB0_6
; %bb.5:                                ;   in Loop: Header=BB0_2 Depth=1
	v_cvt_f32_u32_e32 v3, s28
	s_sub_co_i32 s30, 0, s28
	s_delay_alu instid0(VALU_DEP_1) | instskip(NEXT) | instid1(TRANS32_DEP_1)
	v_rcp_iflag_f32_e32 v3, v3
	v_mul_f32_e32 v3, 0x4f7ffffe, v3
	s_delay_alu instid0(VALU_DEP_1) | instskip(SKIP_1) | instid1(VALU_DEP_1)
	v_cvt_u32_f32_e32 v3, v3
	s_wait_alu 0xfffe
	v_mul_lo_u32 v4, s30, v3
	s_delay_alu instid0(VALU_DEP_1) | instskip(NEXT) | instid1(VALU_DEP_1)
	v_mul_hi_u32 v4, v3, v4
	v_add_nc_u32_e32 v3, v3, v4
	s_delay_alu instid0(VALU_DEP_1) | instskip(NEXT) | instid1(VALU_DEP_1)
	v_mul_hi_u32 v3, v7, v3
	v_mul_lo_u32 v4, v3, s28
	v_add_nc_u32_e32 v6, 1, v3
	s_delay_alu instid0(VALU_DEP_2) | instskip(NEXT) | instid1(VALU_DEP_1)
	v_sub_nc_u32_e32 v4, v7, v4
	v_subrev_nc_u32_e32 v9, s28, v4
	v_cmp_le_u32_e32 vcc_lo, s28, v4
	s_wait_alu 0xfffd
	s_delay_alu instid0(VALU_DEP_2) | instskip(NEXT) | instid1(VALU_DEP_1)
	v_dual_cndmask_b32 v4, v4, v9 :: v_dual_cndmask_b32 v3, v3, v6
	v_cmp_le_u32_e32 vcc_lo, s28, v4
	v_mov_b32_e32 v4, v5
	s_delay_alu instid0(VALU_DEP_3) | instskip(SKIP_1) | instid1(VALU_DEP_1)
	v_add_nc_u32_e32 v6, 1, v3
	s_wait_alu 0xfffd
	v_cndmask_b32_e32 v3, v3, v6, vcc_lo
.LBB0_6:                                ;   in Loop: Header=BB0_2 Depth=1
	s_wait_alu 0xfffe
	s_or_b32 exec_lo, exec_lo, s2
	v_mul_lo_u32 v6, v4, s28
	s_delay_alu instid0(VALU_DEP_2)
	v_mul_lo_u32 v11, v3, s29
	s_load_b64 s[30:31], s[22:23], 0x0
	v_mad_co_u64_u32 v[9:10], null, v3, s28, 0
	s_load_b64 s[28:29], s[20:21], 0x0
	s_add_nc_u64 s[24:25], s[24:25], 1
	s_add_nc_u64 s[20:21], s[20:21], 8
	s_wait_alu 0xfffe
	v_cmp_ge_u64_e64 s2, s[24:25], s[10:11]
	s_add_nc_u64 s[22:23], s[22:23], 8
	s_add_nc_u64 s[26:27], s[26:27], 8
	v_add3_u32 v6, v10, v11, v6
	v_sub_co_u32 v7, vcc_lo, v7, v9
	s_wait_alu 0xfffd
	s_delay_alu instid0(VALU_DEP_2) | instskip(SKIP_2) | instid1(VALU_DEP_1)
	v_sub_co_ci_u32_e32 v6, vcc_lo, v8, v6, vcc_lo
	s_and_b32 vcc_lo, exec_lo, s2
	s_wait_kmcnt 0x0
	v_mul_lo_u32 v8, s30, v6
	v_mul_lo_u32 v9, s31, v7
	v_mad_co_u64_u32 v[27:28], null, s30, v7, v[27:28]
	v_mul_lo_u32 v6, s28, v6
	v_mul_lo_u32 v10, s29, v7
	v_mad_co_u64_u32 v[1:2], null, s28, v7, v[1:2]
	s_delay_alu instid0(VALU_DEP_4) | instskip(NEXT) | instid1(VALU_DEP_2)
	v_add3_u32 v28, v9, v28, v8
	v_add3_u32 v2, v10, v2, v6
	s_wait_alu 0xfffe
	s_cbranch_vccnz .LBB0_9
; %bb.7:                                ;   in Loop: Header=BB0_2 Depth=1
	v_dual_mov_b32 v8, v4 :: v_dual_mov_b32 v7, v3
	s_branch .LBB0_2
.LBB0_8:
	v_dual_mov_b32 v1, v27 :: v_dual_mov_b32 v2, v28
	s_delay_alu instid0(VALU_DEP_2)
	v_dual_mov_b32 v3, v7 :: v_dual_mov_b32 v4, v8
.LBB0_9:
	s_load_b64 s[0:1], s[0:1], 0x28
	v_mul_hi_u32 v5, 0x2d02d03, v0
	s_lshl_b64 s[10:11], s[10:11], 3
                                        ; implicit-def: $vgpr35
	s_wait_alu 0xfffe
	s_add_nc_u64 s[2:3], s[14:15], s[10:11]
                                        ; implicit-def: $sgpr14
                                        ; implicit-def: $sgpr15
	s_wait_kmcnt 0x0
	v_cmp_gt_u64_e32 vcc_lo, s[0:1], v[3:4]
	v_cmp_le_u64_e64 s0, s[0:1], v[3:4]
	s_delay_alu instid0(VALU_DEP_1)
	s_and_saveexec_b32 s1, s0
	s_wait_alu 0xfffe
	s_xor_b32 s0, exec_lo, s1
; %bb.10:
	v_mul_u32_u24_e32 v5, 0x5b, v5
	s_mov_b32 s15, 0
	s_mov_b32 s14, 0
                                        ; implicit-def: $vgpr27_vgpr28
	s_delay_alu instid0(VALU_DEP_1)
	v_sub_nc_u32_e32 v35, v0, v5
                                        ; implicit-def: $vgpr5
                                        ; implicit-def: $vgpr0
; %bb.11:
	s_wait_alu 0xfffe
	s_or_saveexec_b32 s1, s0
	s_load_b64 s[2:3], s[2:3], 0x0
	v_dual_mov_b32 v14, s15 :: v_dual_mov_b32 v13, s15
	v_dual_mov_b32 v34, s14 :: v_dual_mov_b32 v25, s15
	;; [unrolled: 1-line block ×4, first 2 shown]
	v_mov_b32_e32 v22, s15
                                        ; implicit-def: $vgpr6
                                        ; implicit-def: $vgpr10
                                        ; implicit-def: $vgpr8
                                        ; implicit-def: $vgpr12
                                        ; implicit-def: $vgpr16
                                        ; implicit-def: $vgpr18
                                        ; implicit-def: $vgpr20
                                        ; implicit-def: $vgpr33
                                        ; implicit-def: $vgpr31
                                        ; implicit-def: $vgpr29
	s_xor_b32 exec_lo, exec_lo, s1
	s_cbranch_execz .LBB0_15
; %bb.12:
	v_mul_u32_u24_e32 v5, 0x5b, v5
	s_add_nc_u64 s[10:11], s[12:13], s[10:11]
	v_lshlrev_b64_e32 v[7:8], 3, v[27:28]
	s_load_b64 s[10:11], s[10:11], 0x0
	v_mov_b32_e32 v26, 0
	v_sub_nc_u32_e32 v35, v0, v5
                                        ; implicit-def: $vgpr28
                                        ; implicit-def: $vgpr30
                                        ; implicit-def: $vgpr32
	v_mov_b32_e32 v25, 0
	s_delay_alu instid0(VALU_DEP_2) | instskip(SKIP_3) | instid1(VALU_DEP_4)
	v_mad_co_u64_u32 v[5:6], null, s18, v35, 0
	v_add_nc_u32_e32 v21, 0x152, v35
	v_add_nc_u32_e32 v22, 0x1fb, v35
	;; [unrolled: 1-line block ×3, first 2 shown]
	v_mov_b32_e32 v0, v6
	s_delay_alu instid0(VALU_DEP_4) | instskip(NEXT) | instid1(VALU_DEP_2)
	v_mad_co_u64_u32 v[11:12], null, s18, v21, 0
	v_mad_co_u64_u32 v[15:16], null, s19, v35, v[0:1]
	;; [unrolled: 1-line block ×3, first 2 shown]
	v_add_nc_u32_e32 v18, 0xa9, v35
	s_wait_kmcnt 0x0
	v_mul_lo_u32 v6, s11, v3
	v_mul_lo_u32 v19, s10, v4
	v_mad_co_u64_u32 v[13:14], null, s10, v3, 0
	v_mad_co_u64_u32 v[9:10], null, s18, v18, 0
	v_add_nc_u32_e32 v23, 0x2a4, v35
	s_delay_alu instid0(VALU_DEP_3) | instskip(SKIP_1) | instid1(VALU_DEP_4)
	v_add3_u32 v14, v14, v19, v6
	v_mov_b32_e32 v6, v15
	v_mov_b32_e32 v0, v10
	;; [unrolled: 1-line block ×3, first 2 shown]
	s_delay_alu instid0(VALU_DEP_4) | instskip(NEXT) | instid1(VALU_DEP_2)
	v_lshlrev_b64_e32 v[12:13], 3, v[13:14]
	v_mad_co_u64_u32 v[14:15], null, s19, v21, v[10:11]
	v_mov_b32_e32 v15, v17
	v_mad_co_u64_u32 v[18:19], null, s19, v18, v[0:1]
	v_mad_co_u64_u32 v[19:20], null, s18, v23, 0
	v_add_co_u32 v0, s0, s4, v12
	s_wait_alu 0xf1ff
	v_add_co_ci_u32_e64 v13, s0, s5, v13, s0
	s_delay_alu instid0(VALU_DEP_4) | instskip(NEXT) | instid1(VALU_DEP_3)
	v_mov_b32_e32 v10, v18
	v_add_co_u32 v0, s0, v0, v7
	v_add_nc_u32_e32 v18, 0x34d, v35
	s_wait_alu 0xf1ff
	v_add_co_ci_u32_e64 v27, s0, v13, v8, s0
	v_lshlrev_b64_e32 v[7:8], 3, v[9:10]
	v_mad_co_u64_u32 v[9:10], null, s19, v22, v[15:16]
	v_mov_b32_e32 v10, v20
	v_mov_b32_e32 v12, v14
	v_mad_co_u64_u32 v[13:14], null, s18, v18, 0
	s_mov_b32 s4, exec_lo
	s_delay_alu instid0(VALU_DEP_3)
	v_mad_co_u64_u32 v[20:21], null, s19, v23, v[10:11]
	v_mov_b32_e32 v23, 0
	v_lshlrev_b64_e32 v[5:6], 3, v[5:6]
	v_mad_co_u64_u32 v[21:22], null, s18, v24, 0
	v_lshlrev_b64_e32 v[11:12], 3, v[11:12]
	v_dual_mov_b32 v10, v14 :: v_dual_mov_b32 v17, v9
	s_delay_alu instid0(VALU_DEP_4)
	v_add_co_u32 v5, s0, v0, v5
	s_wait_alu 0xf1ff
	v_add_co_ci_u32_e64 v6, s0, v27, v6, s0
	v_add_co_u32 v7, s0, v0, v7
	s_wait_alu 0xf1ff
	v_add_co_ci_u32_e64 v8, s0, v27, v8, s0
	v_mad_co_u64_u32 v[9:10], null, s19, v18, v[10:11]
	v_mov_b32_e32 v10, v22
	v_add_co_u32 v11, s0, v0, v11
	v_lshlrev_b64_e32 v[15:16], 3, v[16:17]
	s_wait_alu 0xf1ff
	v_add_co_ci_u32_e64 v12, s0, v27, v12, s0
	s_delay_alu instid0(VALU_DEP_3)
	v_mad_co_u64_u32 v[17:18], null, s19, v24, v[10:11]
	v_mov_b32_e32 v14, v9
	v_lshlrev_b64_e32 v[18:19], 3, v[19:20]
	v_add_co_u32 v15, s0, v0, v15
	s_wait_alu 0xf1ff
	v_add_co_ci_u32_e64 v16, s0, v27, v16, s0
	v_mov_b32_e32 v22, v17
	v_lshlrev_b64_e32 v[9:10], 3, v[13:14]
	v_add_co_u32 v13, s0, v0, v18
	s_wait_alu 0xf1ff
	v_add_co_ci_u32_e64 v14, s0, v27, v19, s0
	v_lshlrev_b64_e32 v[17:18], 3, v[21:22]
	s_delay_alu instid0(VALU_DEP_4) | instskip(SKIP_3) | instid1(VALU_DEP_4)
	v_add_co_u32 v19, s0, v0, v9
	s_wait_alu 0xf1ff
	v_add_co_ci_u32_e64 v20, s0, v27, v10, s0
	v_mov_b32_e32 v24, 0
	v_add_co_u32 v21, s0, v0, v17
	s_wait_alu 0xf1ff
	v_add_co_ci_u32_e64 v22, s0, v27, v18, s0
	s_clause 0x6
	global_load_b64 v[5:6], v[5:6], off
	global_load_b64 v[9:10], v[7:8], off
	;; [unrolled: 1-line block ×7, first 2 shown]
	v_mov_b32_e32 v13, 0
	v_dual_mov_b32 v21, 0 :: v_dual_mov_b32 v22, 0
	v_mov_b32_e32 v14, 0
	v_cmpx_gt_u32_e32 0x4e, v35
	s_cbranch_execz .LBB0_14
; %bb.13:
	v_add_nc_u32_e32 v28, 0x5b, v35
	v_add_nc_u32_e32 v34, 0x256, v35
	;; [unrolled: 1-line block ×3, first 2 shown]
	s_delay_alu instid0(VALU_DEP_3) | instskip(NEXT) | instid1(VALU_DEP_3)
	v_mad_co_u64_u32 v[13:14], null, s18, v28, 0
	v_mad_co_u64_u32 v[25:26], null, s18, v34, 0
	v_add_nc_u32_e32 v37, 0x2ff, v35
	s_wait_loadcnt 0x2
	s_delay_alu instid0(VALU_DEP_3) | instskip(SKIP_1) | instid1(VALU_DEP_1)
	v_mad_co_u64_u32 v[28:29], null, s19, v28, v[14:15]
	v_add_nc_u32_e32 v33, 0x1ad, v35
	v_mad_co_u64_u32 v[23:24], null, s18, v33, 0
	s_delay_alu instid0(VALU_DEP_1) | instskip(NEXT) | instid1(VALU_DEP_1)
	v_dual_mov_b32 v14, v24 :: v_dual_add_nc_u32 v31, 0x104, v35
	v_mad_co_u64_u32 v[21:22], null, s18, v31, 0
	v_mov_b32_e32 v24, v26
	v_mad_co_u64_u32 v[29:30], null, s18, v37, 0
	v_add_nc_u32_e32 v39, 0x3a8, v35
	s_delay_alu instid0(VALU_DEP_4) | instskip(SKIP_1) | instid1(VALU_DEP_4)
	v_mad_co_u64_u32 v[31:32], null, s19, v31, v[22:23]
	v_mad_co_u64_u32 v[32:33], null, s19, v33, v[14:15]
	v_mov_b32_e32 v26, v30
	v_mov_b32_e32 v14, v28
	s_delay_alu instid0(VALU_DEP_4)
	v_mov_b32_e32 v22, v31
	v_mad_co_u64_u32 v[30:31], null, s19, v34, v[24:25]
	v_mov_b32_e32 v24, v32
	v_mad_co_u64_u32 v[31:32], null, s18, v39, 0
	v_mad_co_u64_u32 v[33:34], null, s19, v37, v[26:27]
	;; [unrolled: 1-line block ×3, first 2 shown]
	v_lshlrev_b64_e32 v[13:14], 3, v[13:14]
	v_mov_b32_e32 v26, v30
	v_mov_b32_e32 v28, v32
	v_lshlrev_b64_e32 v[21:22], 3, v[21:22]
	v_mov_b32_e32 v30, v33
	v_lshlrev_b64_e32 v[23:24], 3, v[23:24]
	v_add_co_u32 v13, s0, v0, v13
	v_mad_co_u64_u32 v[32:33], null, s19, v39, v[28:29]
	v_mov_b32_e32 v28, v38
	s_wait_alu 0xf1ff
	v_add_co_ci_u32_e64 v14, s0, v27, v14, s0
	v_add_co_u32 v21, s0, v0, v21
	s_delay_alu instid0(VALU_DEP_3)
	v_mad_co_u64_u32 v[33:34], null, s19, v40, v[28:29]
	v_lshlrev_b64_e32 v[25:26], 3, v[25:26]
	s_wait_alu 0xf1ff
	v_add_co_ci_u32_e64 v22, s0, v27, v22, s0
	v_add_co_u32 v23, s0, v0, v23
	v_lshlrev_b64_e32 v[28:29], 3, v[29:30]
	s_wait_alu 0xf1ff
	v_add_co_ci_u32_e64 v24, s0, v27, v24, s0
	v_add_co_u32 v39, s0, v0, v25
	v_mov_b32_e32 v38, v33
	s_wait_alu 0xf1ff
	v_add_co_ci_u32_e64 v40, s0, v27, v26, s0
	v_lshlrev_b64_e32 v[25:26], 3, v[31:32]
	v_add_co_u32 v30, s0, v0, v28
	s_wait_alu 0xf1ff
	v_add_co_ci_u32_e64 v31, s0, v27, v29, s0
	v_lshlrev_b64_e32 v[28:29], 3, v[37:38]
	s_delay_alu instid0(VALU_DEP_4) | instskip(SKIP_2) | instid1(VALU_DEP_3)
	v_add_co_u32 v32, s0, v0, v25
	s_wait_alu 0xf1ff
	v_add_co_ci_u32_e64 v33, s0, v27, v26, s0
	v_add_co_u32 v37, s0, v0, v28
	s_wait_alu 0xf1ff
	v_add_co_ci_u32_e64 v38, s0, v27, v29, s0
	s_clause 0x6
	global_load_b64 v[13:14], v[13:14], off
	global_load_b64 v[25:26], v[21:22], off
	;; [unrolled: 1-line block ×7, first 2 shown]
.LBB0_14:
	s_wait_alu 0xfffe
	s_or_b32 exec_lo, exec_lo, s4
	v_mov_b32_e32 v34, v35
.LBB0_15:
	s_or_b32 exec_lo, exec_lo, s1
	s_wait_loadcnt 0x0
	v_dual_add_f32 v27, v9, v19 :: v_dual_and_b32 v0, 1, v36
	v_dual_sub_f32 v36, v10, v20 :: v_dual_add_f32 v37, v7, v17
	v_dual_add_f32 v38, v11, v15 :: v_dual_sub_f32 v39, v8, v18
	v_sub_f32_e32 v40, v16, v12
	s_delay_alu instid0(VALU_DEP_4) | instskip(NEXT) | instid1(VALU_DEP_4)
	v_cmp_eq_u32_e64 s0, 1, v0
	v_add_f32_e32 v41, v37, v27
	s_delay_alu instid0(VALU_DEP_4) | instskip(SKIP_1) | instid1(VALU_DEP_3)
	v_dual_sub_f32 v42, v37, v27 :: v_dual_sub_f32 v27, v27, v38
	v_sub_f32_e32 v37, v38, v37
	v_dual_add_f32 v43, v40, v39 :: v_dual_add_f32 v38, v38, v41
	v_sub_f32_e32 v41, v40, v39
	v_sub_f32_e32 v40, v36, v40
	;; [unrolled: 1-line block ×3, first 2 shown]
	s_delay_alu instid0(VALU_DEP_4)
	v_dual_add_f32 v36, v43, v36 :: v_dual_add_f32 v43, v38, v5
	v_mul_f32_e32 v5, 0x3f4a47b2, v27
	v_mul_f32_e32 v41, 0x3f08b237, v41
	s_wait_alu 0xf1ff
	v_cndmask_b32_e64 v0, 0, 0x49f, s0
	v_cmp_gt_u32_e64 s0, 0x4e, v35
	v_fmamk_f32 v38, v38, 0xbf955555, v43
	v_mul_f32_e32 v27, 0x3d64c772, v37
	v_mul_f32_e32 v44, 0xbf5ff5aa, v39
	v_fmamk_f32 v37, v37, 0x3d64c772, v5
	v_fma_f32 v5, 0xbf3bfb3b, v42, -v5
	v_fma_f32 v39, 0xbf5ff5aa, v39, -v41
	;; [unrolled: 1-line block ×3, first 2 shown]
	s_delay_alu instid0(VALU_DEP_4) | instskip(SKIP_1) | instid1(VALU_DEP_2)
	v_dual_fmamk_f32 v42, v40, 0xbeae86e6, v41 :: v_dual_add_f32 v37, v37, v38
	v_fma_f32 v41, 0x3eae86e6, v40, -v44
	v_dual_add_f32 v27, v27, v38 :: v_dual_fmac_f32 v42, 0xbee1c552, v36
	v_add_f32_e32 v38, v5, v38
	v_mad_u32_u24 v5, v35, 28, 0
	s_delay_alu instid0(VALU_DEP_4) | instskip(NEXT) | instid1(VALU_DEP_4)
	v_fmac_f32_e32 v41, 0xbee1c552, v36
	v_dual_fmac_f32 v39, 0xbee1c552, v36 :: v_dual_add_f32 v36, v42, v37
	v_sub_f32_e32 v37, v37, v42
	s_delay_alu instid0(VALU_DEP_4) | instskip(NEXT) | instid1(VALU_DEP_3)
	v_lshl_add_u32 v40, v0, 2, v5
	v_dual_add_f32 v44, v41, v38 :: v_dual_sub_f32 v45, v27, v39
	v_dual_add_f32 v27, v39, v27 :: v_dual_sub_f32 v38, v38, v41
	ds_store_2addr_b32 v40, v43, v36 offset1:1
	ds_store_2addr_b32 v40, v44, v45 offset0:2 offset1:3
	ds_store_2addr_b32 v40, v27, v38 offset0:4 offset1:5
	ds_store_b32 v40, v37 offset:24
	s_and_saveexec_b32 s1, s0
	s_cbranch_execz .LBB0_17
; %bb.16:
	v_dual_add_f32 v27, v21, v28 :: v_dual_add_f32 v36, v23, v30
	v_dual_add_f32 v37, v25, v32 :: v_dual_sub_f32 v38, v22, v29
	v_dual_sub_f32 v43, v26, v33 :: v_dual_sub_f32 v42, v24, v31
	s_delay_alu instid0(VALU_DEP_2) | instskip(NEXT) | instid1(VALU_DEP_2)
	v_dual_sub_f32 v39, v27, v36 :: v_dual_sub_f32 v44, v37, v27
	v_sub_f32_e32 v47, v43, v38
	s_delay_alu instid0(VALU_DEP_3) | instskip(NEXT) | instid1(VALU_DEP_3)
	v_sub_f32_e32 v45, v42, v43
	v_mul_f32_e32 v39, 0x3d64c772, v39
	v_add_f32_e32 v41, v37, v36
	v_mul_f32_e32 v46, 0x3f4a47b2, v44
	v_sub_f32_e32 v36, v36, v37
	s_delay_alu instid0(VALU_DEP_3) | instskip(NEXT) | instid1(VALU_DEP_1)
	v_dual_fmamk_f32 v44, v44, 0x3f4a47b2, v39 :: v_dual_add_f32 v27, v41, v27
	v_add_f32_e32 v13, v13, v27
	s_delay_alu instid0(VALU_DEP_1) | instskip(SKIP_4) | instid1(VALU_DEP_3)
	v_fmamk_f32 v27, v27, 0xbf955555, v13
	v_sub_f32_e32 v41, v38, v42
	v_add_f32_e32 v38, v42, v38
	v_fma_f32 v42, 0xbf3bfb3b, v36, -v46
	v_fma_f32 v36, 0x3f3bfb3b, v36, -v39
	v_add_f32_e32 v38, v43, v38
	s_delay_alu instid0(VALU_DEP_2) | instskip(NEXT) | instid1(VALU_DEP_1)
	v_dual_add_f32 v36, v36, v27 :: v_dual_mul_f32 v41, 0x3f08b237, v41
	v_fma_f32 v43, 0xbf5ff5aa, v45, -v41
	v_fmamk_f32 v39, v47, 0xbeae86e6, v41
	v_add_f32_e32 v41, v42, v27
	v_dual_add_f32 v27, v44, v27 :: v_dual_add_nc_u32 v44, 0xa04, v40
	s_delay_alu instid0(VALU_DEP_4) | instskip(SKIP_3) | instid1(VALU_DEP_4)
	v_fmac_f32_e32 v43, 0xbee1c552, v38
	v_mul_f32_e32 v37, 0xbf5ff5aa, v45
	v_fmac_f32_e32 v39, 0xbee1c552, v38
	v_add_nc_u32_e32 v45, 0x9f4, v40
	v_add_f32_e32 v42, v43, v36
	s_delay_alu instid0(VALU_DEP_4) | instskip(SKIP_1) | instid1(VALU_DEP_2)
	v_fma_f32 v37, 0x3eae86e6, v47, -v37
	v_dual_sub_f32 v36, v36, v43 :: v_dual_add_nc_u32 v43, 0x9fc, v40
	v_fmac_f32_e32 v37, 0xbee1c552, v38
	s_delay_alu instid0(VALU_DEP_1)
	v_sub_f32_e32 v38, v41, v37
	v_add_f32_e32 v37, v37, v41
	v_add_f32_e32 v41, v39, v27
	v_sub_f32_e32 v27, v27, v39
	ds_store_2addr_b32 v43, v37, v36 offset1:1
	ds_store_2addr_b32 v44, v42, v38 offset1:1
	;; [unrolled: 1-line block ×3, first 2 shown]
	ds_store_b32 v40, v27 offset:2572
.LBB0_17:
	s_wait_alu 0xfffe
	s_or_b32 exec_lo, exec_lo, s1
	v_dual_add_f32 v10, v10, v20 :: v_dual_sub_f32 v9, v9, v19
	v_dual_add_f32 v8, v8, v18 :: v_dual_sub_f32 v7, v7, v17
	;; [unrolled: 1-line block ×3, first 2 shown]
	global_wb scope:SCOPE_SE
	s_wait_dscnt 0x0
	v_add_f32_e32 v13, v8, v10
	v_dual_sub_f32 v15, v8, v10 :: v_dual_sub_f32 v10, v10, v12
	v_add_f32_e32 v16, v11, v7
	v_sub_f32_e32 v8, v12, v8
	s_delay_alu instid0(VALU_DEP_4) | instskip(SKIP_3) | instid1(VALU_DEP_4)
	v_dual_add_f32 v12, v12, v13 :: v_dual_sub_f32 v13, v11, v7
	v_sub_f32_e32 v11, v9, v11
	v_sub_f32_e32 v7, v7, v9
	v_add_f32_e32 v41, v16, v9
	v_add_f32_e32 v42, v12, v6
	v_mul_f32_e32 v6, 0x3f4a47b2, v10
	v_mul_f32_e32 v9, 0x3d64c772, v8
	;; [unrolled: 1-line block ×3, first 2 shown]
	s_wait_kmcnt 0x0
	s_barrier_signal -1
	v_fmamk_f32 v12, v12, 0xbf955555, v42
	v_fmamk_f32 v8, v8, 0x3d64c772, v6
	v_mul_f32_e32 v13, 0xbf5ff5aa, v7
	v_fma_f32 v9, 0x3f3bfb3b, v15, -v9
	v_fma_f32 v6, 0xbf3bfb3b, v15, -v6
	s_barrier_wait -1
	v_add_f32_e32 v46, v8, v12
	v_fma_f32 v45, 0x3eae86e6, v11, -v13
	v_lshlrev_b32_e32 v13, 2, v0
	v_dual_fmamk_f32 v43, v11, 0xbeae86e6, v10 :: v_dual_lshlrev_b32 v0, 2, v35
	v_fma_f32 v44, 0xbf5ff5aa, v7, -v10
	v_mul_i32_i24_e32 v7, 0xffffffe8, v35
	v_fmac_f32_e32 v45, 0xbee1c552, v41
	global_inv scope:SCOPE_SE
	v_add3_u32 v19, 0, v13, v0
	v_fmac_f32_e32 v44, 0xbee1c552, v41
	v_fmac_f32_e32 v43, 0xbee1c552, v41
	v_add3_u32 v0, v5, v7, v13
	s_delay_alu instid0(VALU_DEP_2) | instskip(SKIP_1) | instid1(VALU_DEP_3)
	v_sub_f32_e32 v41, v46, v43
	v_add_f32_e32 v47, v9, v12
	v_add_nc_u32_e32 v27, 0x600, v0
	v_add_nc_u32_e32 v36, 0x800, v0
	;; [unrolled: 1-line block ×4, first 2 shown]
	v_add_f32_e32 v50, v44, v47
	v_sub_f32_e32 v44, v47, v44
	v_dual_add_f32 v48, v6, v12 :: v_dual_add_f32 v43, v43, v46
	v_add_nc_u32_e32 v20, 0x400, v0
	ds_load_b32 v39, v19
	ds_load_2addr_b32 v[9:10], v0 offset0:91 offset1:182
	v_sub_f32_e32 v49, v48, v45
	ds_load_2addr_b32 v[17:18], v20 offset0:17 offset1:108
	ds_load_2addr_b32 v[15:16], v27 offset0:71 offset1:162
	;; [unrolled: 1-line block ×5, first 2 shown]
	v_add_f32_e32 v45, v45, v48
	global_wb scope:SCOPE_SE
	s_wait_dscnt 0x0
	s_barrier_signal -1
	s_barrier_wait -1
	global_inv scope:SCOPE_SE
	ds_store_2addr_b32 v40, v42, v41 offset1:1
	ds_store_2addr_b32 v40, v49, v50 offset0:2 offset1:3
	ds_store_2addr_b32 v40, v44, v45 offset0:4 offset1:5
	ds_store_b32 v40, v43 offset:24
	s_and_saveexec_b32 s1, s0
	s_cbranch_execz .LBB0_19
; %bb.18:
	v_dual_add_f32 v26, v26, v33 :: v_dual_sub_f32 v25, v25, v32
	v_dual_add_f32 v24, v24, v31 :: v_dual_sub_f32 v23, v23, v30
	;; [unrolled: 1-line block ×3, first 2 shown]
	s_delay_alu instid0(VALU_DEP_2) | instskip(NEXT) | instid1(VALU_DEP_2)
	v_dual_add_f32 v28, v26, v24 :: v_dual_sub_f32 v29, v24, v26
	v_sub_f32_e32 v26, v26, v22
	v_sub_f32_e32 v24, v22, v24
	s_delay_alu instid0(VALU_DEP_4) | instskip(NEXT) | instid1(VALU_DEP_4)
	v_add_f32_e32 v30, v23, v21
	v_add_f32_e32 v22, v28, v22
	v_dual_sub_f32 v28, v21, v23 :: v_dual_sub_f32 v23, v23, v25
	s_delay_alu instid0(VALU_DEP_4) | instskip(NEXT) | instid1(VALU_DEP_2)
	v_dual_sub_f32 v21, v25, v21 :: v_dual_mul_f32 v24, 0x3d64c772, v24
	v_mul_f32_e32 v28, 0x3f08b237, v28
	s_delay_alu instid0(VALU_DEP_3)
	v_mul_f32_e32 v31, 0xbf5ff5aa, v23
	v_add_f32_e32 v25, v25, v30
	v_mul_f32_e32 v30, 0x3f4a47b2, v26
	v_fmamk_f32 v26, v26, 0x3f4a47b2, v24
	v_fma_f32 v24, 0x3f3bfb3b, v29, -v24
	v_fma_f32 v23, 0xbf5ff5aa, v23, -v28
	s_delay_alu instid0(VALU_DEP_4) | instskip(SKIP_2) | instid1(VALU_DEP_4)
	v_fma_f32 v29, 0xbf3bfb3b, v29, -v30
	v_fmamk_f32 v30, v21, 0xbeae86e6, v28
	v_fma_f32 v21, 0x3eae86e6, v21, -v31
	v_fmac_f32_e32 v23, 0xbee1c552, v25
	v_add_nc_u32_e32 v28, 0x5b, v35
	s_delay_alu instid0(VALU_DEP_3) | instskip(NEXT) | instid1(VALU_DEP_1)
	v_dual_fmac_f32 v21, 0xbee1c552, v25 :: v_dual_add_f32 v14, v14, v22
	v_fmamk_f32 v22, v22, 0xbf955555, v14
	s_delay_alu instid0(VALU_DEP_1) | instskip(SKIP_1) | instid1(VALU_DEP_1)
	v_add_f32_e32 v26, v26, v22
	v_add_f32_e32 v24, v24, v22
	v_dual_add_f32 v22, v29, v22 :: v_dual_add_f32 v31, v24, v23
	s_delay_alu instid0(VALU_DEP_1) | instskip(SKIP_3) | instid1(VALU_DEP_2)
	v_sub_f32_e32 v29, v22, v21
	v_add_f32_e32 v21, v22, v21
	v_fmac_f32_e32 v30, 0xbee1c552, v25
	v_mul_u32_u24_e32 v25, 28, v28
	v_dual_sub_f32 v23, v24, v23 :: v_dual_sub_f32 v28, v26, v30
	s_delay_alu instid0(VALU_DEP_2)
	v_add3_u32 v25, 0, v25, v13
	v_add_f32_e32 v22, v26, v30
	ds_store_2addr_b32 v25, v14, v28 offset1:1
	ds_store_2addr_b32 v25, v29, v31 offset0:2 offset1:3
	ds_store_2addr_b32 v25, v23, v21 offset0:4 offset1:5
	ds_store_b32 v25, v22 offset:24
.LBB0_19:
	s_wait_alu 0xfffe
	s_or_b32 exec_lo, exec_lo, s1
	v_and_b32_e32 v14, 0xff, v35
	global_wb scope:SCOPE_SE
	s_wait_dscnt 0x0
	s_barrier_signal -1
	s_barrier_wait -1
	global_inv scope:SCOPE_SE
	v_mul_lo_u16 v14, v14, 37
	s_delay_alu instid0(VALU_DEP_1) | instskip(NEXT) | instid1(VALU_DEP_1)
	v_lshrrev_b16 v14, 8, v14
	v_sub_nc_u16 v21, v35, v14
	s_delay_alu instid0(VALU_DEP_1) | instskip(NEXT) | instid1(VALU_DEP_1)
	v_lshrrev_b16 v21, 1, v21
	v_and_b32_e32 v21, 0x7f, v21
	s_delay_alu instid0(VALU_DEP_1) | instskip(NEXT) | instid1(VALU_DEP_1)
	v_add_nc_u16 v14, v21, v14
	v_lshrrev_b16 v21, 2, v14
	s_delay_alu instid0(VALU_DEP_1) | instskip(SKIP_1) | instid1(VALU_DEP_2)
	v_mul_lo_u16 v14, v21, 7
	v_and_b32_e32 v21, 0xffff, v21
	v_sub_nc_u16 v14, v35, v14
	s_delay_alu instid0(VALU_DEP_2) | instskip(NEXT) | instid1(VALU_DEP_2)
	v_mad_u32_u24 v21, 0x16c, v21, 0
	v_and_b32_e32 v14, 0xff, v14
	s_delay_alu instid0(VALU_DEP_1) | instskip(NEXT) | instid1(VALU_DEP_1)
	v_mul_u32_u24_e32 v22, 12, v14
	v_lshlrev_b32_e32 v22, 3, v22
	s_clause 0x5
	global_load_b128 v[41:44], v22, s[8:9]
	global_load_b128 v[45:48], v22, s[8:9] offset:16
	global_load_b128 v[49:52], v22, s[8:9] offset:32
	;; [unrolled: 1-line block ×5, first 2 shown]
	ds_load_2addr_b32 v[65:66], v0 offset0:91 offset1:182
	ds_load_2addr_b32 v[67:68], v20 offset0:17 offset1:108
	ds_load_2addr_b32 v[69:70], v27 offset0:71 offset1:162
	ds_load_2addr_b32 v[71:72], v36 offset0:125 offset1:216
	ds_load_2addr_b32 v[73:74], v37 offset0:51 offset1:142
	ds_load_b32 v30, v19
	ds_load_2addr_b32 v[75:76], v38 offset0:105 offset1:196
	global_wb scope:SCOPE_SE
	s_wait_loadcnt_dscnt 0x0
	s_barrier_signal -1
	s_barrier_wait -1
	global_inv scope:SCOPE_SE
	v_mul_f32_e32 v77, v65, v42
	v_mul_f32_e32 v40, v9, v42
	v_dual_mul_f32 v42, v66, v44 :: v_dual_mul_f32 v33, v67, v46
	v_dual_mul_f32 v44, v10, v44 :: v_dual_mul_f32 v31, v69, v50
	;; [unrolled: 1-line block ×3, first 2 shown]
	v_dual_mul_f32 v32, v68, v48 :: v_dual_fmac_f32 v77, v9, v41
	s_delay_alu instid0(VALU_DEP_4)
	v_dual_mul_f32 v48, v18, v48 :: v_dual_fmac_f32 v33, v17, v45
	v_mul_f32_e32 v29, v70, v52
	v_dual_mul_f32 v52, v16, v52 :: v_dual_fmac_f32 v31, v15, v49
	v_mul_f32_e32 v26, v72, v56
	v_dual_mul_f32 v23, v74, v60 :: v_dual_mul_f32 v28, v71, v54
	v_dual_mul_f32 v54, v11, v54 :: v_dual_fmac_f32 v25, v6, v63
	v_fma_f32 v41, v65, v41, -v40
	v_dual_mul_f32 v50, v15, v50 :: v_dual_fmac_f32 v29, v16, v51
	v_fma_f32 v40, v67, v45, -v46
	v_fma_f32 v15, v70, v51, -v52
	v_dual_fmac_f32 v23, v8, v59 :: v_dual_mul_f32 v24, v75, v62
	v_dual_add_f32 v45, v39, v77 :: v_dual_fmac_f32 v26, v12, v55
	v_fmac_f32_e32 v42, v10, v43
	v_fma_f32 v43, v66, v43, -v44
	v_fmac_f32_e32 v32, v18, v47
	v_mul_f32_e32 v64, v6, v64
	v_fma_f32 v18, v68, v47, -v48
	v_mul_f32_e32 v62, v5, v62
	v_add_f32_e32 v46, v30, v41
	v_fmac_f32_e32 v28, v11, v53
	v_fma_f32 v11, v71, v53, -v54
	v_sub_f32_e32 v51, v33, v23
	v_fmac_f32_e32 v24, v5, v61
	v_fma_f32 v5, v76, v63, -v64
	v_fma_f32 v6, v75, v61, -v62
	v_dual_sub_f32 v63, v15, v11 :: v_dual_mul_f32 v22, v73, v58
	v_mul_f32_e32 v60, v8, v60
	s_delay_alu instid0(VALU_DEP_4)
	v_dual_mul_f32 v56, v12, v56 :: v_dual_add_f32 v47, v41, v5
	v_mul_f32_e32 v58, v7, v58
	v_fma_f32 v17, v69, v49, -v50
	v_dual_sub_f32 v48, v41, v5 :: v_dual_add_f32 v49, v43, v6
	v_dual_sub_f32 v41, v42, v24 :: v_dual_fmac_f32 v22, v7, v57
	v_fma_f32 v7, v74, v59, -v60
	v_fma_f32 v10, v72, v55, -v56
	v_dual_add_f32 v8, v77, v25 :: v_dual_mul_f32 v69, 0x3df6dbef, v47
	v_dual_sub_f32 v12, v77, v25 :: v_dual_mul_f32 v71, 0xbeb58ec6, v47
	s_delay_alu instid0(VALU_DEP_4) | instskip(SKIP_4) | instid1(VALU_DEP_3)
	v_dual_sub_f32 v52, v40, v7 :: v_dual_mul_f32 v79, 0xbf788fa5, v49
	v_add_f32_e32 v55, v40, v7
	v_fma_f32 v9, v73, v57, -v58
	v_dual_sub_f32 v50, v43, v6 :: v_dual_mul_f32 v75, 0x3f116cb1, v49
	v_dual_add_f32 v44, v33, v23 :: v_dual_mul_f32 v77, 0xbeb58ec6, v49
	v_dual_sub_f32 v56, v18, v9 :: v_dual_mul_f32 v85, 0xbe750f2a, v52
	v_dual_add_f32 v57, v18, v9 :: v_dual_sub_f32 v58, v17, v10
	v_dual_mul_f32 v83, 0x3df6dbef, v49 :: v_dual_add_f32 v60, v17, v10
	v_dual_add_f32 v64, v15, v11 :: v_dual_mul_f32 v87, 0x3eedf032, v52
	v_mul_f32_e32 v67, 0x3f116cb1, v47
	v_add_f32_e32 v43, v46, v43
	v_sub_f32_e32 v65, v29, v28
	v_dual_add_f32 v59, v31, v26 :: v_dual_add_f32 v16, v42, v24
	v_sub_f32_e32 v61, v31, v26
	v_dual_add_f32 v42, v45, v42 :: v_dual_mul_f32 v91, 0xbeb58ec6, v55
	v_dual_mul_f32 v46, 0x3f62ad3f, v47 :: v_dual_mul_f32 v101, 0x3f62ad3f, v57
	v_mul_f32_e32 v73, 0xbf3f9e67, v47
	v_dual_mul_f32 v45, 0xbeedf032, v48 :: v_dual_sub_f32 v54, v32, v22
	v_mul_f32_e32 v81, 0xbf3f9e67, v49
	v_mul_f32_e32 v66, 0xbf52af12, v48
	v_dual_mul_f32 v68, 0xbf7e222b, v48 :: v_dual_fmamk_f32 v139, v41, 0xbf7e222b, v83
	v_mul_f32_e32 v70, 0xbf6f5d39, v48
	s_delay_alu instid0(VALU_DEP_4)
	v_dual_mul_f32 v72, 0xbf29c268, v48 :: v_dual_fmamk_f32 v137, v41, 0xbf29c268, v81
	v_mul_f32_e32 v48, 0xbe750f2a, v48
	v_mul_f32_e32 v49, 0x3f62ad3f, v49
	v_dual_mul_f32 v84, 0xbf7e222b, v52 :: v_dual_add_f32 v33, v42, v33
	v_add_f32_e32 v53, v32, v22
	v_mul_f32_e32 v47, 0xbf788fa5, v47
	v_mul_f32_e32 v74, 0xbf52af12, v50
	;; [unrolled: 1-line block ×4, first 2 shown]
	v_dual_mul_f32 v80, 0x3f29c268, v50 :: v_dual_mul_f32 v95, 0x3f29c268, v56
	v_dual_mul_f32 v82, 0x3f7e222b, v50 :: v_dual_fmamk_f32 v125, v12, 0x3f7e222b, v69
	v_dual_mul_f32 v50, 0x3eedf032, v50 :: v_dual_fmamk_f32 v121, v12, 0x3eedf032, v46
	v_dual_mul_f32 v93, 0x3f116cb1, v55 :: v_dual_fmamk_f32 v122, v8, 0x3f116cb1, v66
	v_mul_f32_e32 v96, 0x3eedf032, v56
	v_mul_f32_e32 v102, 0x3df6dbef, v57
	v_dual_mul_f32 v105, 0x3f7e222b, v58 :: v_dual_add_f32 v40, v43, v40
	v_dual_mul_f32 v109, 0xbf3f9e67, v60 :: v_dual_fmamk_f32 v128, v8, 0xbf3f9e67, v72
	v_dual_mul_f32 v117, 0x3f62ad3f, v64 :: v_dual_fmamk_f32 v120, v8, 0x3f62ad3f, v45
	v_fma_f32 v45, 0x3f62ad3f, v8, -v45
	v_dual_fmac_f32 v46, 0xbeedf032, v12 :: v_dual_fmamk_f32 v141, v41, 0xbeedf032, v49
	v_fma_f32 v66, 0x3f116cb1, v8, -v66
	v_dual_fmamk_f32 v124, v8, 0x3df6dbef, v68 :: v_dual_fmamk_f32 v159, v59, 0x3df6dbef, v105
	v_fma_f32 v68, 0x3df6dbef, v8, -v68
	v_fma_f32 v72, 0xbf3f9e67, v8, -v72
	v_dual_fmamk_f32 v133, v41, 0x3f6f5d39, v77 :: v_dual_add_f32 v18, v40, v18
	v_fmac_f32_e32 v77, 0xbf6f5d39, v41
	v_dual_fmamk_f32 v126, v8, 0xbeb58ec6, v70 :: v_dual_add_f32 v121, v30, v121
	v_fma_f32 v70, 0xbeb58ec6, v8, -v70
	v_dual_fmamk_f32 v135, v41, 0x3e750f2a, v79 :: v_dual_add_f32 v120, v39, v120
	v_fmac_f32_e32 v79, 0xbe750f2a, v41
	v_dual_mul_f32 v115, 0xbf788fa5, v64 :: v_dual_fmamk_f32 v130, v8, 0xbf788fa5, v48
	v_fma_f32 v8, 0xbf788fa5, v8, -v48
	v_fmamk_f32 v48, v41, 0x3f52af12, v75
	v_fmac_f32_e32 v75, 0xbf52af12, v41
	v_dual_fmac_f32 v81, 0x3f29c268, v41 :: v_dual_add_f32 v32, v33, v32
	v_fmac_f32_e32 v83, 0x3f7e222b, v41
	v_fmac_f32_e32 v49, 0x3eedf032, v41
	v_fmamk_f32 v41, v44, 0x3df6dbef, v84
	v_fmamk_f32 v156, v54, 0x3f7e222b, v102
	v_dual_mul_f32 v97, 0xbf7e222b, v56 :: v_dual_fmac_f32 v102, 0xbf7e222b, v54
	v_dual_add_f32 v62, v29, v28 :: v_dual_mul_f32 v89, 0x3df6dbef, v55
	v_dual_mul_f32 v86, 0x3f6f5d39, v52 :: v_dual_fmamk_f32 v127, v12, 0x3f6f5d39, v71
	v_mul_f32_e32 v88, 0xbf52af12, v52
	v_dual_mul_f32 v90, 0xbf788fa5, v55 :: v_dual_mul_f32 v103, 0xbf788fa5, v57
	v_dual_mul_f32 v92, 0x3f62ad3f, v55 :: v_dual_mul_f32 v113, 0x3f62ad3f, v60
	v_dual_mul_f32 v55, 0xbf3f9e67, v55 :: v_dual_mul_f32 v100, 0xbf3f9e67, v57
	v_mul_f32_e32 v52, 0xbf29c268, v52
	v_dual_mul_f32 v98, 0x3e750f2a, v56 :: v_dual_mul_f32 v107, 0x3e750f2a, v58
	v_mul_f32_e32 v104, 0xbf29c268, v58
	v_dual_mul_f32 v110, 0x3df6dbef, v60 :: v_dual_fmamk_f32 v151, v53, 0x3df6dbef, v97
	s_delay_alu instid0(VALU_DEP_3) | instskip(NEXT) | instid1(VALU_DEP_2)
	v_dual_mul_f32 v112, 0xbf788fa5, v60 :: v_dual_fmamk_f32 v161, v59, 0xbf788fa5, v107
	v_dual_fmac_f32 v69, 0xbf7e222b, v12 :: v_dual_fmamk_f32 v164, v61, 0xbf7e222b, v110
	v_fmamk_f32 v129, v12, 0x3f29c268, v73
	v_fmac_f32_e32 v73, 0xbf29c268, v12
	v_mul_f32_e32 v99, 0xbeb58ec6, v57
	v_mul_f32_e32 v57, 0x3f116cb1, v57
	;; [unrolled: 1-line block ×3, first 2 shown]
	v_dual_mul_f32 v114, 0xbe750f2a, v63 :: v_dual_fmamk_f32 v157, v54, 0xbe750f2a, v103
	v_mul_f32_e32 v116, 0x3eedf032, v63
	v_mul_f32_e32 v118, 0xbf29c268, v63
	v_dual_mul_f32 v119, 0xbf3f9e67, v64 :: v_dual_fmamk_f32 v136, v16, 0xbf3f9e67, v80
	v_fmamk_f32 v123, v12, 0x3f52af12, v67
	v_fmac_f32_e32 v67, 0xbf52af12, v12
	v_fmac_f32_e32 v71, 0xbf6f5d39, v12
	v_fmamk_f32 v131, v12, 0x3e750f2a, v47
	v_fmac_f32_e32 v47, 0xbe750f2a, v12
	v_fmamk_f32 v12, v16, 0x3f116cb1, v74
	v_fma_f32 v74, 0x3f116cb1, v16, -v74
	v_dual_fmamk_f32 v132, v16, 0xbeb58ec6, v76 :: v_dual_add_f32 v67, v30, v67
	v_fma_f32 v76, 0xbeb58ec6, v16, -v76
	v_dual_fmamk_f32 v134, v16, 0xbf788fa5, v78 :: v_dual_add_f32 v125, v30, v125
	v_fma_f32 v78, 0xbf788fa5, v16, -v78
	v_fma_f32 v80, 0xbf3f9e67, v16, -v80
	v_dual_fmamk_f32 v138, v16, 0x3df6dbef, v82 :: v_dual_add_f32 v69, v30, v69
	v_fma_f32 v82, 0x3df6dbef, v16, -v82
	v_dual_fmamk_f32 v140, v16, 0x3f62ad3f, v50 :: v_dual_add_f32 v127, v30, v127
	v_fma_f32 v16, 0x3f62ad3f, v16, -v50
	v_fma_f32 v50, 0x3df6dbef, v44, -v84
	v_fmamk_f32 v84, v44, 0xbf788fa5, v85
	v_fma_f32 v85, 0xbf788fa5, v44, -v85
	v_dual_fmamk_f32 v142, v44, 0xbeb58ec6, v86 :: v_dual_add_f32 v71, v30, v71
	v_fma_f32 v86, 0xbeb58ec6, v44, -v86
	v_dual_fmamk_f32 v143, v44, 0x3f62ad3f, v87 :: v_dual_fmamk_f32 v150, v53, 0x3f62ad3f, v96
	v_fma_f32 v87, 0x3f62ad3f, v44, -v87
	v_dual_fmamk_f32 v43, v51, 0x3e750f2a, v90 :: v_dual_add_f32 v46, v30, v46
	v_fmamk_f32 v147, v51, 0x3f52af12, v93
	v_fmac_f32_e32 v93, 0xbf52af12, v51
	v_dual_mul_f32 v111, 0x3f116cb1, v60 :: v_dual_fmamk_f32 v144, v44, 0x3f116cb1, v88
	v_mul_f32_e32 v106, 0xbf52af12, v58
	v_dual_mul_f32 v58, 0xbf6f5d39, v58 :: v_dual_add_f32 v45, v39, v45
	v_mul_f32_e32 v60, 0xbeb58ec6, v60
	v_mul_f32_e32 v94, 0xbf6f5d39, v56
	;; [unrolled: 1-line block ×3, first 2 shown]
	v_fma_f32 v88, 0x3f116cb1, v44, -v88
	v_dual_fmamk_f32 v154, v54, 0xbf29c268, v100 :: v_dual_add_f32 v69, v79, v69
	v_fmac_f32_e32 v100, 0x3f29c268, v54
	v_dual_fmamk_f32 v42, v51, 0x3f7e222b, v89 :: v_dual_add_f32 v129, v30, v129
	v_dual_fmac_f32 v89, 0xbf7e222b, v51 :: v_dual_add_f32 v66, v39, v66
	v_dual_fmac_f32 v103, 0x3e750f2a, v54 :: v_dual_add_f32 v128, v39, v128
	v_fmamk_f32 v166, v61, 0xbe750f2a, v112
	v_fmac_f32_e32 v112, 0x3e750f2a, v61
	v_dual_fmamk_f32 v148, v51, 0x3f29c268, v55 :: v_dual_add_f32 v131, v30, v131
	v_fmac_f32_e32 v55, 0xbf29c268, v51
	v_dual_fmamk_f32 v145, v44, 0xbf3f9e67, v52 :: v_dual_add_f32 v122, v39, v122
	v_fma_f32 v44, 0xbf3f9e67, v44, -v52
	v_dual_fmamk_f32 v52, v51, 0xbf6f5d39, v91 :: v_dual_add_f32 v73, v30, v73
	v_fmac_f32_e32 v90, 0xbe750f2a, v51
	v_dual_fmac_f32 v91, 0x3f6f5d39, v51 :: v_dual_fmamk_f32 v168, v61, 0x3f6f5d39, v60
	v_dual_fmamk_f32 v146, v51, 0xbeedf032, v92 :: v_dual_fmamk_f32 v155, v54, 0xbeedf032, v101
	v_fmac_f32_e32 v92, 0x3eedf032, v51
	v_dual_fmamk_f32 v51, v53, 0xbeb58ec6, v94 :: v_dual_add_f32 v124, v39, v124
	v_fma_f32 v94, 0xbeb58ec6, v53, -v94
	v_fmamk_f32 v149, v53, 0xbf3f9e67, v95
	v_fma_f32 v95, 0xbf3f9e67, v53, -v95
	v_fma_f32 v96, 0x3f62ad3f, v53, -v96
	;; [unrolled: 1-line block ×3, first 2 shown]
	v_dual_fmamk_f32 v152, v53, 0xbf788fa5, v98 :: v_dual_add_f32 v31, v32, v31
	v_fma_f32 v98, 0xbf788fa5, v53, -v98
	v_dual_fmamk_f32 v153, v53, 0x3f116cb1, v56 :: v_dual_add_f32 v68, v39, v68
	v_fma_f32 v53, 0x3f116cb1, v53, -v56
	v_dual_fmamk_f32 v56, v54, 0x3f6f5d39, v99 :: v_dual_add_f32 v67, v77, v67
	v_fmac_f32_e32 v99, 0xbf6f5d39, v54
	v_fmac_f32_e32 v101, 0x3eedf032, v54
	v_fma_f32 v105, 0x3df6dbef, v59, -v105
	v_fma_f32 v107, 0xbf788fa5, v59, -v107
	v_dual_fmamk_f32 v163, v59, 0xbeb58ec6, v58 :: v_dual_add_f32 v12, v12, v120
	v_fma_f32 v58, 0xbeb58ec6, v59, -v58
	v_dual_fmamk_f32 v165, v61, 0x3f52af12, v111 :: v_dual_add_f32 v126, v39, v126
	v_fmamk_f32 v158, v54, 0xbf52af12, v57
	v_dual_fmac_f32 v57, 0x3f52af12, v54 :: v_dual_add_f32 v72, v39, v72
	v_fmamk_f32 v54, v59, 0xbf3f9e67, v104
	v_fma_f32 v104, 0xbf3f9e67, v59, -v104
	v_fmac_f32_e32 v111, 0xbf52af12, v61
	v_dual_fmamk_f32 v160, v59, 0x3f116cb1, v106 :: v_dual_add_f32 v17, v18, v17
	v_fma_f32 v106, 0x3f116cb1, v59, -v106
	v_dual_fmamk_f32 v167, v61, 0xbeedf032, v113 :: v_dual_add_f32 v130, v39, v130
	v_fmac_f32_e32 v113, 0x3eedf032, v61
	v_dual_fmamk_f32 v162, v59, 0x3f62ad3f, v108 :: v_dual_add_f32 v45, v74, v45
	v_fma_f32 v108, 0x3f62ad3f, v59, -v108
	v_dual_fmamk_f32 v59, v61, 0x3f29c268, v109 :: v_dual_add_f32 v70, v39, v70
	v_fmac_f32_e32 v109, 0xbf29c268, v61
	v_dual_fmamk_f32 v33, v65, 0x3e750f2a, v115 :: v_dual_add_f32 v8, v39, v8
	v_dual_fmamk_f32 v40, v62, 0x3f62ad3f, v116 :: v_dual_add_f32 v73, v83, v73
	v_add_f32_e32 v123, v30, v123
	v_add_f32_e32 v30, v30, v47
	v_dual_fmamk_f32 v47, v62, 0xbf3f9e67, v118 :: v_dual_add_f32 v46, v75, v46
	s_delay_alu instid0(VALU_DEP_4)
	v_dual_add_f32 v66, v76, v66 :: v_dual_add_f32 v73, v93, v73
	v_add_f32_e32 v76, v135, v125
	v_dual_fmac_f32 v60, 0xbf6f5d39, v61 :: v_dual_add_f32 v71, v81, v71
	v_dual_fmamk_f32 v39, v65, 0xbeedf032, v117 :: v_dual_add_f32 v18, v48, v121
	v_dual_fmac_f32 v117, 0x3eedf032, v65 :: v_dual_add_f32 v70, v80, v70
	v_dual_add_f32 v15, v17, v15 :: v_dual_add_f32 v72, v82, v72
	v_add_f32_e32 v8, v16, v8
	v_add_f32_e32 v12, v41, v12
	;; [unrolled: 1-line block ×4, first 2 shown]
	v_dual_add_f32 v16, v49, v30 :: v_dual_add_f32 v49, v52, v76
	v_add_f32_e32 v68, v78, v68
	v_dual_add_f32 v78, v137, v127 :: v_dual_add_f32 v29, v31, v29
	v_add_f32_e32 v82, v141, v131
	v_dual_fmac_f32 v110, 0x3f7e222b, v61 :: v_dual_add_f32 v75, v134, v124
	v_fmac_f32_e32 v115, 0xbe750f2a, v65
	v_dual_fmamk_f32 v32, v65, 0x3f29c268, v119 :: v_dual_add_f32 v81, v140, v130
	v_dual_add_f32 v77, v136, v126 :: v_dual_add_f32 v80, v139, v129
	v_dual_add_f32 v30, v50, v45 :: v_dual_add_f32 v43, v43, v74
	v_add_f32_e32 v45, v85, v66
	v_add_f32_e32 v48, v132, v122
	;; [unrolled: 1-line block ×7, first 2 shown]
	v_dual_add_f32 v12, v51, v12 :: v_dual_fmamk_f32 v61, v62, 0xbf788fa5, v114
	v_add_f32_e32 v79, v138, v128
	v_add_f32_e32 v18, v42, v18
	v_dual_add_f32 v52, v91, v69 :: v_dual_add_f32 v69, v92, v71
	v_add_f32_e32 v71, v147, v80
	v_dual_add_f32 v42, v84, v48 :: v_dual_add_f32 v31, v154, v43
	v_add_f32_e32 v66, v143, v77
	v_add_f32_e32 v74, v145, v81
	v_dual_add_f32 v10, v11, v10 :: v_dual_fmac_f32 v119, 0xbf29c268, v65
	v_add_f32_e32 v11, v54, v12
	v_add_f32_e32 v48, v142, v75
	v_dual_add_f32 v68, v87, v70 :: v_dual_add_f32 v51, v102, v69
	v_dual_add_f32 v70, v144, v79 :: v_dual_add_f32 v17, v158, v17
	v_add_f32_e32 v8, v44, v8
	v_dual_add_f32 v28, v29, v28 :: v_dual_add_f32 v29, v99, v41
	v_add_f32_e32 v41, v95, v45
	v_add_f32_e32 v15, v56, v18
	;; [unrolled: 1-line block ×4, first 2 shown]
	v_dual_add_f32 v44, v155, v49 :: v_dual_add_f32 v49, v156, v67
	v_add_f32_e32 v55, v157, v71
	v_add_f32_e32 v67, v153, v74
	v_dual_add_f32 v43, v150, v48 :: v_dual_add_f32 v48, v151, v66
	v_dual_add_f32 v9, v10, v9 :: v_dual_add_f32 v30, v149, v42
	v_add_f32_e32 v45, v96, v50
	v_add_f32_e32 v42, v100, v46
	;; [unrolled: 1-line block ×4, first 2 shown]
	v_dual_add_f32 v52, v152, v70 :: v_dual_add_f32 v7, v9, v7
	v_fma_f32 v114, 0xbf788fa5, v62, -v114
	v_dual_add_f32 v12, v59, v15 :: v_dual_add_f32 v15, v104, v18
	v_add_f32_e32 v50, v97, v68
	v_dual_add_f32 v18, v109, v29 :: v_dual_add_f32 v29, v164, v31
	v_add_f32_e32 v31, v110, v42
	v_add_f32_e32 v56, v98, v72
	;; [unrolled: 1-line block ×4, first 2 shown]
	v_dual_add_f32 v46, v166, v49 :: v_dual_add_f32 v49, v112, v51
	v_add_f32_e32 v6, v7, v6
	v_add_f32_e32 v26, v28, v26
	;; [unrolled: 1-line block ×3, first 2 shown]
	v_dual_add_f32 v30, v105, v41 :: v_dual_add_f32 v41, v160, v43
	v_dual_add_f32 v16, v57, v16 :: v_dual_add_f32 v43, v106, v45
	;; [unrolled: 1-line block ×3, first 2 shown]
	v_add_f32_e32 v10, v61, v11
	v_dual_add_f32 v11, v114, v15 :: v_dual_add_f32 v48, v107, v50
	v_dual_add_f32 v50, v162, v52 :: v_dual_add_f32 v15, v47, v41
	v_mul_f32_e32 v41, 0x3df6dbef, v64
	v_add_f32_e32 v52, v108, v56
	v_add_f32_e32 v56, v60, v16
	;; [unrolled: 1-line block ×4, first 2 shown]
	v_fma_f32 v116, 0x3f62ad3f, v62, -v116
	v_add_f32_e32 v8, v53, v8
	v_lshlrev_b32_e32 v14, 2, v14
	v_add_f32_e32 v12, v16, v23
	s_delay_alu instid0(VALU_DEP_4) | instskip(SKIP_1) | instid1(VALU_DEP_3)
	v_dual_mul_f32 v16, 0x3f116cb1, v64 :: v_dual_add_f32 v7, v116, v30
	v_mul_f32_e32 v30, 0xbf6f5d39, v63
	v_dual_add_f32 v51, v167, v55 :: v_dual_add_f32 v12, v12, v24
	v_dual_add_f32 v24, v117, v31 :: v_dual_add_f32 v55, v168, v17
	s_delay_alu instid0(VALU_DEP_3) | instskip(NEXT) | instid1(VALU_DEP_3)
	v_dual_fmamk_f32 v31, v62, 0xbeb58ec6, v30 :: v_dual_add_f32 v26, v32, v42
	v_add_f32_e32 v12, v12, v25
	v_add_f32_e32 v25, v6, v5
	v_fma_f32 v5, 0xbf3f9e67, v62, -v118
	v_mul_f32_e32 v6, 0x3f52af12, v63
	v_dual_mul_f32 v32, 0xbeb58ec6, v64 :: v_dual_add_f32 v23, v39, v29
	v_fma_f32 v30, 0xbeb58ec6, v62, -v30
	s_delay_alu instid0(VALU_DEP_4) | instskip(SKIP_3) | instid1(VALU_DEP_4)
	v_dual_add_f32 v5, v5, v43 :: v_dual_add_f32 v66, v103, v73
	v_dual_add_f32 v9, v40, v28 :: v_dual_fmamk_f32 v28, v65, 0xbf52af12, v16
	v_fmac_f32_e32 v16, 0x3f52af12, v65
	v_fmamk_f32 v17, v62, 0x3f116cb1, v6
	v_add_f32_e32 v53, v113, v66
	v_fmamk_f32 v39, v65, 0x3f6f5d39, v32
	v_fmac_f32_e32 v32, 0xbf6f5d39, v65
	v_dual_add_f32 v33, v16, v49 :: v_dual_add_f32 v16, v31, v50
	v_dual_mul_f32 v31, 0x3f7e222b, v63 :: v_dual_add_f32 v8, v58, v8
	v_fma_f32 v6, 0x3f116cb1, v62, -v6
	v_add3_u32 v21, v21, v14, v13
	s_delay_alu instid0(VALU_DEP_3) | instskip(SKIP_1) | instid1(VALU_DEP_4)
	v_dual_add_f32 v17, v17, v45 :: v_dual_fmamk_f32 v40, v62, 0x3df6dbef, v31
	v_fma_f32 v31, 0x3df6dbef, v62, -v31
	v_add_f32_e32 v6, v6, v48
	v_fmamk_f32 v42, v65, 0xbf7e222b, v41
	s_delay_alu instid0(VALU_DEP_4) | instskip(NEXT) | instid1(VALU_DEP_4)
	v_dual_fmac_f32 v41, 0x3f7e222b, v65 :: v_dual_add_f32 v40, v40, v54
	v_add_f32_e32 v8, v31, v8
	v_add_f32_e32 v30, v30, v52
	ds_store_2addr_b32 v21, v12, v10 offset1:7
	ds_store_2addr_b32 v21, v9, v15 offset0:14 offset1:21
	ds_store_2addr_b32 v21, v17, v16 offset0:28 offset1:35
	;; [unrolled: 1-line block ×5, first 2 shown]
	ds_store_b32 v21, v11 offset:336
	global_wb scope:SCOPE_SE
	s_wait_dscnt 0x0
	s_barrier_signal -1
	s_barrier_wait -1
	global_inv scope:SCOPE_SE
	ds_load_b32 v17, v19
	ds_load_2addr_b32 v[13:14], v0 offset0:91 offset1:182
	ds_load_2addr_b32 v[9:10], v20 offset0:17 offset1:108
	;; [unrolled: 1-line block ×6, first 2 shown]
	v_add_f32_e32 v27, v32, v53
	v_add_f32_e32 v28, v28, v46
	;; [unrolled: 1-line block ×3, first 2 shown]
	v_dual_add_f32 v30, v42, v55 :: v_dual_add_f32 v31, v41, v56
	v_add_f32_e32 v29, v119, v44
	v_add_f32_e32 v18, v115, v18
	global_wb scope:SCOPE_SE
	s_wait_dscnt 0x0
	s_barrier_signal -1
	s_barrier_wait -1
	global_inv scope:SCOPE_SE
	ds_store_2addr_b32 v21, v25, v22 offset1:7
	ds_store_2addr_b32 v21, v23, v26 offset0:14 offset1:21
	ds_store_2addr_b32 v21, v28, v20 offset0:28 offset1:35
	;; [unrolled: 1-line block ×5, first 2 shown]
	ds_store_b32 v21, v18 offset:336
	global_wb scope:SCOPE_SE
	s_wait_dscnt 0x0
	s_barrier_signal -1
	s_barrier_wait -1
	global_inv scope:SCOPE_SE
	s_and_saveexec_b32 s0, vcc_lo
	s_cbranch_execz .LBB0_21
; %bb.20:
	v_mul_u32_u24_e32 v18, 12, v35
	v_mul_lo_u32 v20, s3, v3
	v_mul_lo_u32 v25, s2, v4
	v_mad_co_u64_u32 v[3:4], null, s2, v3, 0
	s_delay_alu instid0(VALU_DEP_4)
	v_lshlrev_b32_e32 v18, 3, v18
	s_clause 0x5
	global_load_b128 v[35:38], v18, s[8:9] offset:672
	global_load_b128 v[21:24], v18, s[8:9] offset:752
	;; [unrolled: 1-line block ×6, first 2 shown]
	v_add_nc_u32_e32 v26, 0xe00, v0
	ds_load_b32 v18, v19
	v_add_nc_u32_e32 v19, 0x400, v0
	v_add_nc_u32_e32 v27, 0xc00, v0
	ds_load_2addr_b32 v[39:40], v0 offset0:91 offset1:182
	v_add_nc_u32_e32 v28, 0x600, v0
	v_add_nc_u32_e32 v0, 0x800, v0
	v_add3_u32 v4, v4, v25, v20
	s_delay_alu instid0(VALU_DEP_1) | instskip(NEXT) | instid1(VALU_DEP_1)
	v_lshlrev_b64_e32 v[3:4], 3, v[3:4]
	v_add_co_u32 v3, vcc_lo, s6, v3
	s_wait_alu 0xfffd
	s_delay_alu instid0(VALU_DEP_2)
	v_add_co_ci_u32_e32 v4, vcc_lo, s7, v4, vcc_lo
	s_wait_loadcnt 0x5
	v_mul_f32_e32 v31, v14, v38
	ds_load_2addr_b32 v[41:42], v26 offset0:105 offset1:196
	ds_load_2addr_b32 v[60:61], v19 offset0:17 offset1:108
	ds_load_2addr_b32 v[62:63], v27 offset0:51 offset1:142
	ds_load_2addr_b32 v[64:65], v28 offset0:71 offset1:162
	ds_load_2addr_b32 v[66:67], v0 offset0:125 offset1:216
	v_mul_f32_e32 v29, v13, v35
	s_wait_loadcnt 0x4
	v_mul_f32_e32 v0, v16, v23
	v_mul_f32_e32 v16, v16, v24
	v_dual_mul_f32 v19, v13, v36 :: v_dual_mul_f32 v28, v14, v37
	s_wait_loadcnt 0x2
	v_dual_mul_f32 v14, v12, v50 :: v_dual_mul_f32 v13, v15, v21
	v_mul_f32_e32 v15, v15, v22
	v_dual_mul_f32 v27, v9, v44 :: v_dual_mul_f32 v26, v10, v46
	v_dual_mul_f32 v33, v12, v51 :: v_dual_mul_f32 v12, v11, v48
	v_mul_f32_e32 v9, v9, v45
	v_dual_mul_f32 v11, v11, v49 :: v_dual_mul_f32 v10, v10, v47
	s_wait_loadcnt 0x0
	v_dual_mul_f32 v25, v5, v52 :: v_dual_mul_f32 v20, v8, v58
	v_dual_mul_f32 v8, v8, v59 :: v_dual_mul_f32 v5, v5, v53
	v_mul_f32_e32 v32, v6, v54
	s_wait_dscnt 0x4
	v_dual_mul_f32 v30, v7, v56 :: v_dual_fmac_f32 v13, v41, v22
	v_dual_mul_f32 v7, v7, v57 :: v_dual_mul_f32 v6, v6, v55
	v_fmac_f32_e32 v29, v39, v36
	s_wait_dscnt 0x3
	v_dual_fmac_f32 v0, v42, v24 :: v_dual_fmac_f32 v27, v60, v45
	v_fma_f32 v23, v42, v23, -v16
	v_fma_f32 v24, v41, v21, -v15
	;; [unrolled: 1-line block ×3, first 2 shown]
	v_fmac_f32_e32 v28, v40, v38
	s_wait_dscnt 0x1
	v_dual_fmac_f32 v14, v63, v51 :: v_dual_fmac_f32 v25, v64, v53
	v_fma_f32 v31, v63, v50, -v33
	v_fma_f32 v40, v60, v44, -v9
	;; [unrolled: 1-line block ×3, first 2 shown]
	s_delay_alu instid0(VALU_DEP_4)
	v_dual_fmac_f32 v12, v62, v49 :: v_dual_sub_f32 v19, v27, v14
	v_fma_f32 v33, v62, v48, -v11
	v_fma_f32 v39, v61, v46, -v10
	s_wait_dscnt 0x0
	v_fma_f32 v35, v67, v58, -v8
	v_fma_f32 v38, v64, v52, -v5
	v_fmac_f32_e32 v32, v65, v55
	v_fma_f32 v36, v66, v56, -v7
	v_add_f32_e32 v55, v39, v33
	v_fma_f32 v37, v65, v54, -v6
	v_fmac_f32_e32 v30, v66, v57
	v_dual_sub_f32 v22, v29, v0 :: v_dual_add_f32 v45, v38, v35
	v_dual_add_f32 v53, v42, v24 :: v_dual_fmac_f32 v26, v61, v47
	v_sub_f32_e32 v21, v28, v13
	v_dual_add_f32 v54, v40, v31 :: v_dual_sub_f32 v49, v42, v24
	s_delay_alu instid0(VALU_DEP_3) | instskip(SKIP_2) | instid1(VALU_DEP_3)
	v_dual_fmac_f32 v20, v67, v59 :: v_dual_sub_f32 v9, v26, v12
	v_dual_add_f32 v41, v37, v36 :: v_dual_add_f32 v52, v43, v23
	v_dual_sub_f32 v5, v32, v30 :: v_dual_sub_f32 v50, v43, v23
	v_dual_add_f32 v7, v25, v20 :: v_dual_sub_f32 v48, v40, v31
	v_dual_sub_f32 v47, v39, v33 :: v_dual_sub_f32 v46, v38, v35
	v_dual_mul_f32 v59, 0x3f29c268, v9 :: v_dual_sub_f32 v44, v37, v36
	v_mul_f32_e32 v63, 0xbf6f5d39, v49
	v_dual_mul_f32 v56, 0xbf52af12, v22 :: v_dual_mul_f32 v81, 0xbf52af12, v19
	v_dual_mul_f32 v58, 0xbe750f2a, v19 :: v_dual_mul_f32 v91, 0xbe750f2a, v22
	;; [unrolled: 1-line block ×4, first 2 shown]
	v_dual_sub_f32 v8, v25, v20 :: v_dual_add_f32 v15, v28, v13
	v_dual_add_f32 v16, v29, v0 :: v_dual_add_f32 v11, v27, v14
	v_dual_add_f32 v10, v26, v12 :: v_dual_mul_f32 v57, 0xbf6f5d39, v21
	v_dual_mul_f32 v62, 0xbf52af12, v50 :: v_dual_mul_f32 v87, 0xbf52af12, v48
	v_dual_mul_f32 v70, 0xbf7e222b, v9 :: v_dual_mul_f32 v109, 0xbf7e222b, v50
	;; [unrolled: 1-line block ×3, first 2 shown]
	s_delay_alu instid0(VALU_DEP_2)
	v_dual_mul_f32 v103, 0x3df6dbef, v52 :: v_dual_fmamk_f32 v134, v55, 0x3df6dbef, v70
	v_dual_mul_f32 v106, 0x3f62ad3f, v55 :: v_dual_mul_f32 v115, 0x3f62ad3f, v52
	v_dual_mul_f32 v108, 0xbf3f9e67, v41 :: v_dual_fmamk_f32 v143, v52, 0xbf3f9e67, v79
	v_dual_mul_f32 v116, 0x3f116cb1, v53 :: v_dual_fmamk_f32 v119, v52, 0x3f116cb1, v56
	v_dual_fmamk_f32 v131, v52, 0xbeb58ec6, v67 :: v_dual_fmamk_f32 v148, v41, 0xbeb58ec6, v84
	v_fmamk_f32 v155, v52, 0xbf788fa5, v91
	v_fma_f32 v91, 0xbf788fa5, v52, -v91
	v_fma_f32 v79, 0xbf3f9e67, v52, -v79
	;; [unrolled: 1-line block ×4, first 2 shown]
	v_mul_f32_e32 v85, 0xbf29c268, v50
	v_dual_mul_f32 v64, 0xbe750f2a, v48 :: v_dual_mul_f32 v97, 0xbe750f2a, v50
	v_dual_mul_f32 v71, 0x3e750f2a, v8 :: v_dual_mul_f32 v82, 0x3e750f2a, v9
	;; [unrolled: 1-line block ×3, first 2 shown]
	v_dual_mul_f32 v74, 0x3f29c268, v49 :: v_dual_add_f32 v119, v18, v119
	v_dual_mul_f32 v80, 0x3f7e222b, v21 :: v_dual_add_f32 v143, v18, v143
	v_dual_mul_f32 v94, 0x3f52af12, v9 :: v_dual_add_f32 v91, v18, v91
	v_fma_f32 v125, 0x3f116cb1, v16, -v62
	v_fma_f32 v152, 0xbf788fa5, v10, -v88
	v_fmac_f32_e32 v88, 0xbf788fa5, v10
	v_dual_mul_f32 v86, 0x3f7e222b, v49 :: v_dual_add_f32 v155, v18, v155
	v_add_f32_e32 v52, v18, v52
	v_fma_f32 v149, 0xbf3f9e67, v16, -v85
	v_fmac_f32_e32 v85, 0xbf3f9e67, v16
	v_mul_f32_e32 v60, 0x3f7e222b, v8
	v_dual_mul_f32 v65, 0x3f29c268, v47 :: v_dual_mul_f32 v68, 0x3f29c268, v21
	v_dual_mul_f32 v51, 0x3eedf032, v44 :: v_dual_mul_f32 v92, 0x3eedf032, v21
	;; [unrolled: 1-line block ×3, first 2 shown]
	v_dual_mul_f32 v76, 0xbf7e222b, v47 :: v_dual_add_f32 v125, v17, v125
	v_dual_mul_f32 v96, 0x3f7e222b, v5 :: v_dual_add_f32 v79, v18, v79
	v_dual_mul_f32 v104, 0xbf788fa5, v53 :: v_dual_fmamk_f32 v121, v54, 0xbf788fa5, v58
	v_dual_mul_f32 v105, 0xbeb58ec6, v54 :: v_dual_mul_f32 v118, 0xbeb58ec6, v55
	v_dual_mul_f32 v117, 0x3df6dbef, v54 :: v_dual_fmamk_f32 v144, v53, 0x3df6dbef, v80
	v_fma_f32 v126, 0xbeb58ec6, v15, -v63
	v_dual_fmamk_f32 v135, v45, 0xbf788fa5, v71 :: v_dual_fmamk_f32 v146, v55, 0xbf788fa5, v82
	v_fma_f32 v137, 0xbeb58ec6, v16, -v73
	v_fma_f32 v138, 0xbf3f9e67, v15, -v74
	v_dual_fmamk_f32 v145, v54, 0x3f116cb1, v81 :: v_dual_fmamk_f32 v158, v55, 0x3f116cb1, v94
	v_fma_f32 v150, 0x3df6dbef, v15, -v86
	v_fma_f32 v161, 0xbf788fa5, v16, -v97
	v_fmamk_f32 v122, v55, 0xbf3f9e67, v59
	v_fma_f32 v80, 0x3df6dbef, v53, -v80
	v_fma_f32 v94, 0x3f116cb1, v55, -v94
	;; [unrolled: 1-line block ×3, first 2 shown]
	v_add_f32_e32 v161, v17, v161
	v_fma_f32 v70, 0x3df6dbef, v55, -v70
	v_fmac_f32_e32 v74, 0xbf3f9e67, v15
	v_dual_fmac_f32 v86, 0x3df6dbef, v15 :: v_dual_add_f32 v85, v17, v85
	v_fmac_f32_e32 v73, 0xbeb58ec6, v16
	v_fma_f32 v55, 0xbf3f9e67, v55, -v59
	v_fmamk_f32 v59, v22, 0x3f7e222b, v103
	v_fmamk_f32 v120, v53, 0xbeb58ec6, v57
	v_dual_mul_f32 v75, 0x3eedf032, v48 :: v_dual_mul_f32 v112, 0x3eedf032, v47
	v_dual_mul_f32 v78, 0x3f52af12, v44 :: v_dual_add_f32 v131, v18, v131
	v_mul_f32_e32 v93, 0xbf29c268, v19
	v_dual_mul_f32 v110, 0xbe750f2a, v49 :: v_dual_add_f32 v67, v18, v67
	v_dual_fmamk_f32 v133, v54, 0x3f62ad3f, v69 :: v_dual_fmamk_f32 v156, v53, 0x3f62ad3f, v92
	v_fma_f32 v140, 0x3df6dbef, v10, -v76
	v_dual_fmamk_f32 v160, v41, 0x3df6dbef, v96 :: v_dual_fmamk_f32 v169, v16, 0x3df6dbef, v109
	v_fma_f32 v92, 0x3f62ad3f, v53, -v92
	v_fmac_f32_e32 v62, 0x3f116cb1, v16
	v_dual_fmamk_f32 v176, v21, 0x3f52af12, v116 :: v_dual_add_f32 v79, v79, v80
	v_dual_add_f32 v59, v18, v59 :: v_dual_fmamk_f32 v164, v21, 0x3e750f2a, v104
	v_dual_add_f32 v119, v119, v120 :: v_dual_add_f32 v120, v125, v126
	v_dual_fmamk_f32 v132, v53, 0xbf3f9e67, v68 :: v_dual_fmamk_f32 v157, v54, 0xbf3f9e67, v93
	v_fma_f32 v68, 0xbf3f9e67, v53, -v68
	v_fma_f32 v53, 0xbeb58ec6, v53, -v57
	v_add_f32_e32 v80, v85, v86
	v_dual_fmac_f32 v76, 0x3df6dbef, v10 :: v_dual_add_f32 v73, v17, v73
	v_dual_add_f32 v6, v32, v30 :: v_dual_mul_f32 v61, 0x3eedf032, v5
	s_delay_alu instid0(VALU_DEP_4)
	v_dual_mul_f32 v89, 0x3eedf032, v46 :: v_dual_add_f32 v52, v52, v53
	v_fma_f32 v139, 0x3f62ad3f, v11, -v75
	v_fma_f32 v93, 0xbf3f9e67, v54, -v93
	;; [unrolled: 1-line block ×5, first 2 shown]
	v_fmac_f32_e32 v75, 0x3f62ad3f, v11
	v_dual_fmamk_f32 v166, v9, 0xbeedf032, v106 :: v_dual_add_f32 v125, v131, v132
	v_dual_fmamk_f32 v168, v5, 0x3f29c268, v108 :: v_dual_add_f32 v131, v143, v144
	s_delay_alu instid0(VALU_DEP_4)
	v_dual_fmac_f32 v63, 0xbeb58ec6, v15 :: v_dual_add_f32 v52, v52, v54
	v_add_f32_e32 v169, v17, v169
	v_dual_mul_f32 v83, 0x3eedf032, v8 :: v_dual_add_f32 v62, v17, v62
	v_dual_add_f32 v67, v67, v68 :: v_dual_add_f32 v68, v73, v74
	v_dual_fmamk_f32 v123, v45, 0x3df6dbef, v60 :: v_dual_add_f32 v86, v131, v145
	v_fmamk_f32 v124, v41, 0x3f62ad3f, v61
	v_fma_f32 v128, 0xbf3f9e67, v10, -v65
	v_fma_f32 v175, 0x3f62ad3f, v41, -v61
	v_dual_fmac_f32 v65, 0xbf3f9e67, v10 :: v_dual_add_f32 v68, v68, v75
	v_add_f32_e32 v53, v62, v63
	v_add_f32_e32 v63, v125, v133
	v_fmamk_f32 v61, v22, 0x3eedf032, v115
	v_dual_mul_f32 v100, 0x3f52af12, v47 :: v_dual_add_f32 v137, v17, v137
	v_mul_f32_e32 v95, 0xbf6f5d39, v8
	v_fma_f32 v127, 0xbf788fa5, v11, -v64
	s_delay_alu instid0(VALU_DEP_4) | instskip(SKIP_3) | instid1(VALU_DEP_4)
	v_add_f32_e32 v61, v18, v61
	v_mul_f32_e32 v101, 0xbf6f5d39, v46
	v_add_f32_e32 v126, v137, v138
	v_dual_mul_f32 v66, 0x3f7e222b, v46 :: v_dual_fmamk_f32 v177, v19, 0x3f7e222b, v117
	v_dual_add_f32 v74, v61, v176 :: v_dual_add_f32 v61, v119, v121
	v_add_f32_e32 v52, v52, v55
	v_dual_mul_f32 v102, 0x3f7e222b, v44 :: v_dual_add_f32 v149, v17, v149
	v_dual_mul_f32 v113, 0xbf52af12, v46 :: v_dual_add_f32 v62, v120, v127
	v_fma_f32 v141, 0xbf788fa5, v7, -v77
	v_dual_fmac_f32 v97, 0xbf788fa5, v16 :: v_dual_fmamk_f32 v170, v15, 0xbf788fa5, v110
	v_dual_add_f32 v85, v126, v139 :: v_dual_add_f32 v54, v61, v122
	v_fma_f32 v129, 0x3df6dbef, v7, -v66
	v_fma_f32 v130, 0x3f62ad3f, v6, -v51
	;; [unrolled: 1-line block ×5, first 2 shown]
	v_mul_f32_e32 v111, 0x3f6f5d39, v48
	v_fma_f32 v56, 0x3f116cb1, v10, -v100
	v_fma_f32 v58, 0x3df6dbef, v6, -v102
	v_dual_fmac_f32 v100, 0x3f116cb1, v10 :: v_dual_fmac_f32 v87, 0x3f116cb1, v11
	v_dual_fmac_f32 v102, 0x3df6dbef, v6 :: v_dual_add_f32 v97, v17, v97
	v_add_f32_e32 v67, v67, v69
	v_add_f32_e32 v61, v62, v128
	;; [unrolled: 1-line block ×3, first 2 shown]
	v_dual_add_f32 v62, v63, v134 :: v_dual_add_f32 v63, v85, v140
	v_add_f32_e32 v29, v17, v29
	v_fma_f32 v142, 0x3f116cb1, v6, -v78
	v_dual_add_f32 v138, v161, v162 :: v_dual_fmamk_f32 v171, v11, 0xbeb58ec6, v111
	v_dual_add_f32 v80, v80, v87 :: v_dual_add_f32 v67, v67, v70
	s_delay_alu instid0(VALU_DEP_4)
	v_dual_add_f32 v28, v29, v28 :: v_dual_add_f32 v43, v43, v18
	v_add_f32_e32 v55, v61, v129
	v_mul_f32_e32 v29, 0xbf52af12, v49
	v_dual_add_f32 v61, v62, v135 :: v_dual_add_f32 v62, v63, v141
	v_add_f32_e32 v79, v79, v81
	v_dual_fmamk_f32 v147, v45, 0x3f62ad3f, v83 :: v_dual_fmac_f32 v98, 0x3f62ad3f, v15
	v_fma_f32 v153, 0x3f62ad3f, v7, -v89
	v_fma_f32 v83, 0x3f62ad3f, v45, -v83
	v_dual_fmac_f32 v89, 0x3f62ad3f, v7 :: v_dual_fmamk_f32 v172, v10, 0x3f62ad3f, v112
	v_dual_fmac_f32 v64, 0xbf788fa5, v11 :: v_dual_add_f32 v137, v155, v156
	v_dual_add_f32 v73, v169, v170 :: v_dual_add_f32 v80, v80, v88
	v_add_f32_e32 v42, v43, v42
	v_add_f32_e32 v79, v79, v82
	;; [unrolled: 1-line block ×3, first 2 shown]
	v_dual_mul_f32 v99, 0xbf29c268, v48 :: v_dual_add_f32 v132, v149, v150
	v_mul_f32_e32 v107, 0x3f116cb1, v45
	v_mul_f32_e32 v72, 0x3f52af12, v5
	v_add_f32_e32 v68, v68, v76
	v_add_f32_e32 v40, v42, v40
	v_dual_add_f32 v53, v53, v64 :: v_dual_add_f32 v76, v79, v83
	v_dual_add_f32 v79, v80, v89 :: v_dual_add_f32 v26, v27, v26
	v_fma_f32 v163, 0xbf3f9e67, v11, -v99
	v_fma_f32 v57, 0xbeb58ec6, v7, -v101
	v_fmac_f32_e32 v101, 0xbeb58ec6, v7
	v_fmamk_f32 v167, v8, 0x3f52af12, v107
	v_fmamk_f32 v136, v41, 0x3f116cb1, v72
	v_dual_fmac_f32 v66, 0x3df6dbef, v7 :: v_dual_add_f32 v91, v91, v92
	v_dual_add_f32 v92, v97, v98 :: v_dual_add_f32 v97, v132, v151
	v_fmac_f32_e32 v107, 0xbf52af12, v8
	v_add_f32_e32 v25, v26, v25
	v_dual_fmamk_f32 v159, v45, 0xbeb58ec6, v95 :: v_dual_fmac_f32 v90, 0xbeb58ec6, v6
	v_dual_fmac_f32 v77, 0xbf788fa5, v7 :: v_dual_add_f32 v98, v137, v157
	v_dual_add_f32 v59, v59, v164 :: v_dual_add_f32 v64, v86, v146
	v_add_f32_e32 v119, v138, v163
	s_delay_alu instid0(VALU_DEP_3)
	v_dual_add_f32 v69, v73, v171 :: v_dual_add_f32 v68, v68, v77
	v_add_f32_e32 v73, v97, v152
	v_dual_add_f32 v53, v53, v65 :: v_dual_mul_f32 v50, 0xbeedf032, v50
	v_dual_add_f32 v25, v25, v32 :: v_dual_fmac_f32 v108, 0xbf29c268, v5
	v_dual_fmac_f32 v99, 0xbf3f9e67, v11 :: v_dual_fmamk_f32 v174, v6, 0xbf3f9e67, v114
	v_dual_fmac_f32 v78, 0x3f116cb1, v6 :: v_dual_fmamk_f32 v173, v7, 0x3f116cb1, v113
	s_delay_alu instid0(VALU_DEP_2)
	v_dual_fmamk_f32 v165, v19, 0xbf6f5d39, v105 :: v_dual_add_f32 v92, v92, v99
	v_fma_f32 v60, 0x3df6dbef, v45, -v60
	v_dual_fmac_f32 v51, 0x3f62ad3f, v6 :: v_dual_add_f32 v56, v119, v56
	v_dual_add_f32 v91, v91, v93 :: v_dual_add_f32 v80, v53, v66
	v_add_f32_e32 v75, v98, v158
	v_add_f32_e32 v63, v64, v147
	;; [unrolled: 1-line block ×5, first 2 shown]
	v_dual_add_f32 v64, v73, v153 :: v_dual_fmac_f32 v105, 0x3f6f5d39, v19
	v_fmac_f32_e32 v117, 0xbf7e222b, v19
	v_fma_f32 v19, 0x3f62ad3f, v10, -v112
	v_add_f32_e32 v25, v25, v30
	v_dual_add_f32 v69, v69, v172 :: v_dual_add_f32 v70, v56, v57
	v_add_f32_e32 v56, v64, v154
	v_add_f32_e32 v64, v68, v78
	;; [unrolled: 1-line block ×3, first 2 shown]
	v_dual_add_f32 v65, v75, v159 :: v_dual_mul_f32 v26, 0xbf788fa5, v41
	v_dual_add_f32 v77, v52, v60 :: v_dual_add_f32 v52, v55, v130
	v_dual_fmamk_f32 v28, v15, 0x3f116cb1, v29 :: v_dual_add_f32 v55, v61, v136
	v_dual_add_f32 v20, v20, v25 :: v_dual_fmac_f32 v103, 0xbf7e222b, v22
	v_fmac_f32_e32 v115, 0xbeedf032, v22
	v_fmac_f32_e32 v116, 0xbf52af12, v21
	v_dual_add_f32 v59, v59, v165 :: v_dual_add_f32 v58, v70, v58
	s_delay_alu instid0(VALU_DEP_4) | instskip(SKIP_3) | instid1(VALU_DEP_3)
	v_add_f32_e32 v12, v12, v20
	v_fmamk_f32 v51, v16, 0x3f62ad3f, v50
	v_dual_add_f32 v25, v18, v103 :: v_dual_fmac_f32 v104, 0xbe750f2a, v21
	v_fma_f32 v95, 0xbeb58ec6, v45, -v95
	v_dual_add_f32 v12, v14, v12 :: v_dual_add_f32 v49, v17, v51
	v_dual_add_f32 v39, v40, v39 :: v_dual_mul_f32 v40, 0xbf7e222b, v48
	v_add_f32_e32 v69, v69, v173
	v_add_f32_e32 v57, v63, v148
	s_delay_alu instid0(VALU_DEP_4) | instskip(NEXT) | instid1(VALU_DEP_4)
	v_dual_add_f32 v27, v49, v28 :: v_dual_add_f32 v18, v18, v115
	v_dual_fmamk_f32 v28, v11, 0x3df6dbef, v40 :: v_dual_add_f32 v85, v92, v100
	s_delay_alu instid0(VALU_DEP_4)
	v_add_f32_e32 v66, v69, v174
	v_add_f32_e32 v12, v13, v12
	;; [unrolled: 1-line block ×3, first 2 shown]
	v_fma_f32 v71, 0xbf788fa5, v45, -v71
	v_add_f32_e32 v75, v85, v101
	v_dual_mul_f32 v45, 0xbf3f9e67, v45 :: v_dual_add_f32 v20, v25, v104
	v_add_f32_e32 v59, v59, v166
	v_mul_f32_e32 v39, 0xbf6f5d39, v47
	v_add_f32_e32 v37, v38, v37
	s_delay_alu instid0(VALU_DEP_4) | instskip(NEXT) | instid1(VALU_DEP_4)
	v_dual_add_f32 v67, v67, v71 :: v_dual_fmamk_f32 v42, v8, 0x3f29c268, v45
	v_add_f32_e32 v71, v59, v167
	s_delay_alu instid0(VALU_DEP_4) | instskip(NEXT) | instid1(VALU_DEP_4)
	v_dual_add_f32 v27, v27, v28 :: v_dual_fmamk_f32 v28, v10, 0xbeb58ec6, v39
	v_add_f32_e32 v36, v37, v36
	v_fmamk_f32 v32, v5, 0x3e750f2a, v26
	v_add_f32_e32 v69, v77, v175
	v_fma_f32 v84, 0xbeb58ec6, v41, -v84
	v_add_f32_e32 v27, v27, v28
	v_add_f32_e32 v28, v35, v36
	v_fma_f32 v72, 0x3f116cb1, v41, -v72
	v_dual_add_f32 v18, v18, v116 :: v_dual_add_f32 v81, v91, v94
	v_add_f32_e32 v70, v74, v177
	s_delay_alu instid0(VALU_DEP_4) | instskip(SKIP_1) | instid1(VALU_DEP_4)
	v_add_f32_e32 v28, v33, v28
	v_dual_add_f32 v63, v76, v84 :: v_dual_fmac_f32 v106, 0x3eedf032, v9
	v_dual_mul_f32 v37, 0xbf29c268, v46 :: v_dual_add_f32 v18, v18, v117
	v_mul_f32_e32 v35, 0xbe750f2a, v44
	v_add_f32_e32 v59, v65, v160
	v_dual_add_f32 v65, v67, v72 :: v_dual_add_f32 v20, v20, v105
	v_add_f32_e32 v67, v71, v168
	v_dual_fmamk_f32 v71, v9, 0x3f6f5d39, v118 :: v_dual_add_f32 v28, v31, v28
	v_add_f32_e32 v13, v0, v12
	s_delay_alu instid0(VALU_DEP_4) | instskip(NEXT) | instid1(VALU_DEP_3)
	v_add_f32_e32 v20, v20, v106
	v_dual_fmac_f32 v118, 0xbf6f5d39, v9 :: v_dual_add_f32 v43, v70, v71
	s_delay_alu instid0(VALU_DEP_4) | instskip(NEXT) | instid1(VALU_DEP_3)
	v_add_f32_e32 v28, v24, v28
	v_dual_fmac_f32 v45, 0xbf29c268, v8 :: v_dual_add_f32 v0, v20, v107
	v_fma_f32 v20, 0xbeb58ec6, v11, -v111
	s_delay_alu instid0(VALU_DEP_4) | instskip(NEXT) | instid1(VALU_DEP_4)
	v_dual_add_f32 v73, v81, v95 :: v_dual_add_f32 v42, v43, v42
	v_add_f32_e32 v14, v23, v28
	v_fma_f32 v23, 0x3df6dbef, v16, -v109
	v_fma_f32 v16, 0x3f62ad3f, v16, -v50
	v_dual_add_f32 v9, v0, v108 :: v_dual_fmamk_f32 v30, v7, 0xbf3f9e67, v37
	v_add_f32_e32 v18, v18, v118
	s_delay_alu instid0(VALU_DEP_4)
	v_add_f32_e32 v22, v17, v23
	v_fma_f32 v23, 0xbf788fa5, v15, -v110
	v_add_f32_e32 v16, v17, v16
	v_fma_f32 v15, 0x3f116cb1, v15, -v29
	v_fma_f32 v17, 0x3f116cb1, v7, -v113
	v_dual_add_f32 v25, v42, v32 :: v_dual_fmac_f32 v26, 0xbe750f2a, v5
	v_add_f32_e32 v12, v22, v23
	s_delay_alu instid0(VALU_DEP_4)
	v_add_f32_e32 v15, v16, v15
	v_fma_f32 v16, 0x3df6dbef, v11, -v40
	v_fma_f32 v96, 0x3df6dbef, v41, -v96
	v_add_f32_e32 v60, v75, v102
	v_add_f32_e32 v12, v12, v20
	v_add_nc_u32_e32 v20, 0x5b, v34
	v_add_f32_e32 v8, v15, v16
	v_fma_f32 v10, 0xbeb58ec6, v10, -v39
	s_delay_alu instid0(VALU_DEP_4) | instskip(SKIP_2) | instid1(VALU_DEP_3)
	v_add_f32_e32 v0, v12, v19
	v_mad_co_u64_u32 v[11:12], null, s16, v34, 0
	v_mad_co_u64_u32 v[15:16], null, s16, v20, 0
	v_add_f32_e32 v17, v0, v17
	v_fma_f32 v19, 0xbf3f9e67, v6, -v114
	v_add_f32_e32 v10, v8, v10
	v_mov_b32_e32 v0, v12
	v_fma_f32 v12, 0xbf3f9e67, v7, -v37
	s_delay_alu instid0(VALU_DEP_2)
	v_mad_co_u64_u32 v[7:8], null, s17, v34, v[0:1]
	v_dual_add_f32 v8, v17, v19 :: v_dual_add_nc_u32 v19, 0xb6, v34
	v_dual_mov_b32 v0, v16 :: v_dual_add_f32 v27, v27, v30
	v_add_f32_e32 v18, v18, v45
	v_lshlrev_b64_e32 v[1:2], 3, v[1:2]
	v_fmamk_f32 v30, v6, 0xbf788fa5, v35
	v_add_f32_e32 v10, v10, v12
	s_delay_alu instid0(VALU_DEP_4)
	v_dual_mov_b32 v12, v7 :: v_dual_add_f32 v5, v18, v26
	v_fma_f32 v18, 0xbf788fa5, v6, -v35
	v_mad_co_u64_u32 v[6:7], null, s16, v19, 0
	v_mad_co_u64_u32 v[16:17], null, s17, v20, v[0:1]
	v_add_co_u32 v20, vcc_lo, v3, v1
	s_wait_alu 0xfffd
	v_add_co_ci_u32_e32 v21, vcc_lo, v4, v2, vcc_lo
	v_lshlrev_b64_e32 v[1:2], 3, v[11:12]
	v_mov_b32_e32 v0, v7
	v_dual_add_f32 v61, v73, v96 :: v_dual_add_nc_u32 v12, 0x111, v34
	v_add_f32_e32 v24, v27, v30
	s_delay_alu instid0(VALU_DEP_3)
	v_mad_co_u64_u32 v[3:4], null, s17, v19, v[0:1]
	v_add_co_u32 v0, vcc_lo, v20, v1
	s_wait_alu 0xfffd
	v_add_co_ci_u32_e32 v1, vcc_lo, v21, v2, vcc_lo
	v_add_f32_e32 v4, v10, v18
	v_lshlrev_b64_e32 v[10:11], 3, v[15:16]
	v_mov_b32_e32 v7, v3
	v_mad_co_u64_u32 v[15:16], null, s16, v12, 0
	global_store_b64 v[0:1], v[13:14], off
	v_add_nc_u32_e32 v14, 0x16c, v34
	v_add_co_u32 v0, vcc_lo, v20, v10
	s_wait_alu 0xfffd
	v_add_co_ci_u32_e32 v1, vcc_lo, v21, v11, vcc_lo
	s_delay_alu instid0(VALU_DEP_3)
	v_mad_co_u64_u32 v[10:11], null, s16, v14, 0
	v_dual_mov_b32 v2, v16 :: v_dual_add_nc_u32 v19, 0x1c7, v34
	v_lshlrev_b64_e32 v[6:7], 3, v[6:7]
	global_store_b64 v[0:1], v[24:25], off
	v_mad_co_u64_u32 v[2:3], null, s17, v12, v[2:3]
	v_mov_b32_e32 v3, v11
	v_mad_co_u64_u32 v[12:13], null, s16, v19, 0
	v_add_co_u32 v6, vcc_lo, v20, v6
	s_delay_alu instid0(VALU_DEP_3)
	v_mad_co_u64_u32 v[17:18], null, s17, v14, v[3:4]
	v_add_nc_u32_e32 v22, 0x222, v34
	v_mov_b32_e32 v16, v2
	v_mov_b32_e32 v0, v13
	s_wait_alu 0xfffd
	v_add_co_ci_u32_e32 v7, vcc_lo, v21, v7, vcc_lo
	v_mov_b32_e32 v11, v17
	v_mad_co_u64_u32 v[2:3], null, s16, v22, 0
	v_mad_co_u64_u32 v[0:1], null, s17, v19, v[0:1]
	global_store_b64 v[6:7], v[68:69], off
	v_lshlrev_b64_e32 v[6:7], 3, v[15:16]
	v_add_nc_u32_e32 v17, 0x27d, v34
	v_lshlrev_b64_e32 v[10:11], 3, v[10:11]
	v_mov_b32_e32 v1, v3
	v_add_nc_u32_e32 v19, 0x3e9, v34
	v_mov_b32_e32 v13, v0
	v_add_co_u32 v6, vcc_lo, v20, v6
	s_delay_alu instid0(VALU_DEP_4)
	v_mad_co_u64_u32 v[14:15], null, s17, v22, v[1:2]
	v_mad_co_u64_u32 v[15:16], null, s16, v17, 0
	s_wait_alu 0xfffd
	v_add_co_ci_u32_e32 v7, vcc_lo, v21, v7, vcc_lo
	v_add_co_u32 v0, vcc_lo, v20, v10
	s_wait_alu 0xfffd
	v_add_co_ci_u32_e32 v1, vcc_lo, v21, v11, vcc_lo
	v_dual_mov_b32 v3, v14 :: v_dual_add_nc_u32 v14, 0x333, v34
	global_store_b64 v[6:7], v[66:67], off
	v_mov_b32_e32 v6, v16
	v_lshlrev_b64_e32 v[10:11], 3, v[12:13]
	global_store_b64 v[0:1], v[64:65], off
	v_lshlrev_b64_e32 v[0:1], 3, v[2:3]
	v_add_nc_u32_e32 v12, 0x2d8, v34
	v_mad_co_u64_u32 v[2:3], null, s17, v17, v[6:7]
	v_add_co_u32 v6, vcc_lo, v20, v10
	s_wait_alu 0xfffd
	v_add_co_ci_u32_e32 v7, vcc_lo, v21, v11, vcc_lo
	v_add_co_u32 v0, vcc_lo, v20, v0
	s_wait_alu 0xfffd
	v_add_co_ci_u32_e32 v1, vcc_lo, v21, v1, vcc_lo
	v_mov_b32_e32 v16, v2
	global_store_b64 v[6:7], v[62:63], off
	v_mad_co_u64_u32 v[2:3], null, s16, v12, 0
	global_store_b64 v[0:1], v[60:61], off
	v_lshlrev_b64_e32 v[0:1], 3, v[15:16]
	v_add_nc_u32_e32 v16, 0x38e, v34
	v_mad_co_u64_u32 v[6:7], null, s16, v14, 0
	v_mad_co_u64_u32 v[12:13], null, s17, v12, v[3:4]
	s_delay_alu instid0(VALU_DEP_3) | instskip(SKIP_1) | instid1(VALU_DEP_4)
	v_mad_co_u64_u32 v[10:11], null, s16, v16, 0
	v_add_co_u32 v0, vcc_lo, v20, v0
	v_mad_co_u64_u32 v[13:14], null, s17, v14, v[7:8]
	v_mad_co_u64_u32 v[14:15], null, s16, v19, 0
	s_delay_alu instid0(VALU_DEP_4) | instskip(SKIP_3) | instid1(VALU_DEP_3)
	v_mov_b32_e32 v3, v11
	s_wait_alu 0xfffd
	v_add_co_ci_u32_e32 v1, vcc_lo, v21, v1, vcc_lo
	v_add_nc_u32_e32 v22, 0x444, v34
	v_mad_co_u64_u32 v[16:17], null, s17, v16, v[3:4]
	v_mov_b32_e32 v3, v12
	global_store_b64 v[0:1], v[58:59], off
	v_mad_co_u64_u32 v[17:18], null, s16, v22, 0
	v_mov_b32_e32 v0, v15
	v_lshlrev_b64_e32 v[1:2], 3, v[2:3]
	v_mov_b32_e32 v7, v13
	v_mov_b32_e32 v11, v16
	s_delay_alu instid0(VALU_DEP_3)
	v_mad_co_u64_u32 v[12:13], null, s17, v19, v[0:1]
	v_mov_b32_e32 v0, v18
	v_add_co_u32 v1, vcc_lo, v20, v1
	v_lshlrev_b64_e32 v[6:7], 3, v[6:7]
	v_lshlrev_b64_e32 v[10:11], 3, v[10:11]
	s_wait_alu 0xfffd
	v_add_co_ci_u32_e32 v2, vcc_lo, v21, v2, vcc_lo
	v_mad_co_u64_u32 v[18:19], null, s17, v22, v[0:1]
	v_mov_b32_e32 v15, v12
	v_add_co_u32 v6, vcc_lo, v20, v6
	s_wait_alu 0xfffd
	v_add_co_ci_u32_e32 v7, vcc_lo, v21, v7, vcc_lo
	s_delay_alu instid0(VALU_DEP_3) | instskip(SKIP_4) | instid1(VALU_DEP_4)
	v_lshlrev_b64_e32 v[12:13], 3, v[14:15]
	v_add_co_u32 v10, vcc_lo, v20, v10
	v_lshlrev_b64_e32 v[14:15], 3, v[17:18]
	s_wait_alu 0xfffd
	v_add_co_ci_u32_e32 v11, vcc_lo, v21, v11, vcc_lo
	v_add_co_u32 v12, vcc_lo, v20, v12
	s_wait_alu 0xfffd
	v_add_co_ci_u32_e32 v13, vcc_lo, v21, v13, vcc_lo
	v_add_co_u32 v14, vcc_lo, v20, v14
	s_wait_alu 0xfffd
	v_add_co_ci_u32_e32 v15, vcc_lo, v21, v15, vcc_lo
	s_clause 0x4
	global_store_b64 v[1:2], v[56:57], off
	global_store_b64 v[6:7], v[54:55], off
	;; [unrolled: 1-line block ×5, first 2 shown]
.LBB0_21:
	s_nop 0
	s_sendmsg sendmsg(MSG_DEALLOC_VGPRS)
	s_endpgm
	.section	.rodata,"a",@progbits
	.p2align	6, 0x0
	.amdhsa_kernel fft_rtc_back_len1183_factors_7_13_13_wgs_182_tpt_91_halfLds_sp_op_CI_CI_sbrr_dirReg
		.amdhsa_group_segment_fixed_size 0
		.amdhsa_private_segment_fixed_size 0
		.amdhsa_kernarg_size 104
		.amdhsa_user_sgpr_count 2
		.amdhsa_user_sgpr_dispatch_ptr 0
		.amdhsa_user_sgpr_queue_ptr 0
		.amdhsa_user_sgpr_kernarg_segment_ptr 1
		.amdhsa_user_sgpr_dispatch_id 0
		.amdhsa_user_sgpr_private_segment_size 0
		.amdhsa_wavefront_size32 1
		.amdhsa_uses_dynamic_stack 0
		.amdhsa_enable_private_segment 0
		.amdhsa_system_sgpr_workgroup_id_x 1
		.amdhsa_system_sgpr_workgroup_id_y 0
		.amdhsa_system_sgpr_workgroup_id_z 0
		.amdhsa_system_sgpr_workgroup_info 0
		.amdhsa_system_vgpr_workitem_id 0
		.amdhsa_next_free_vgpr 178
		.amdhsa_next_free_sgpr 43
		.amdhsa_reserve_vcc 1
		.amdhsa_float_round_mode_32 0
		.amdhsa_float_round_mode_16_64 0
		.amdhsa_float_denorm_mode_32 3
		.amdhsa_float_denorm_mode_16_64 3
		.amdhsa_fp16_overflow 0
		.amdhsa_workgroup_processor_mode 1
		.amdhsa_memory_ordered 1
		.amdhsa_forward_progress 0
		.amdhsa_round_robin_scheduling 0
		.amdhsa_exception_fp_ieee_invalid_op 0
		.amdhsa_exception_fp_denorm_src 0
		.amdhsa_exception_fp_ieee_div_zero 0
		.amdhsa_exception_fp_ieee_overflow 0
		.amdhsa_exception_fp_ieee_underflow 0
		.amdhsa_exception_fp_ieee_inexact 0
		.amdhsa_exception_int_div_zero 0
	.end_amdhsa_kernel
	.text
.Lfunc_end0:
	.size	fft_rtc_back_len1183_factors_7_13_13_wgs_182_tpt_91_halfLds_sp_op_CI_CI_sbrr_dirReg, .Lfunc_end0-fft_rtc_back_len1183_factors_7_13_13_wgs_182_tpt_91_halfLds_sp_op_CI_CI_sbrr_dirReg
                                        ; -- End function
	.section	.AMDGPU.csdata,"",@progbits
; Kernel info:
; codeLenInByte = 11608
; NumSgprs: 45
; NumVgprs: 178
; ScratchSize: 0
; MemoryBound: 0
; FloatMode: 240
; IeeeMode: 1
; LDSByteSize: 0 bytes/workgroup (compile time only)
; SGPRBlocks: 5
; VGPRBlocks: 22
; NumSGPRsForWavesPerEU: 45
; NumVGPRsForWavesPerEU: 178
; Occupancy: 8
; WaveLimiterHint : 1
; COMPUTE_PGM_RSRC2:SCRATCH_EN: 0
; COMPUTE_PGM_RSRC2:USER_SGPR: 2
; COMPUTE_PGM_RSRC2:TRAP_HANDLER: 0
; COMPUTE_PGM_RSRC2:TGID_X_EN: 1
; COMPUTE_PGM_RSRC2:TGID_Y_EN: 0
; COMPUTE_PGM_RSRC2:TGID_Z_EN: 0
; COMPUTE_PGM_RSRC2:TIDIG_COMP_CNT: 0
	.text
	.p2alignl 7, 3214868480
	.fill 96, 4, 3214868480
	.type	__hip_cuid_85a0e433410bf2e,@object ; @__hip_cuid_85a0e433410bf2e
	.section	.bss,"aw",@nobits
	.globl	__hip_cuid_85a0e433410bf2e
__hip_cuid_85a0e433410bf2e:
	.byte	0                               ; 0x0
	.size	__hip_cuid_85a0e433410bf2e, 1

	.ident	"AMD clang version 19.0.0git (https://github.com/RadeonOpenCompute/llvm-project roc-6.4.0 25133 c7fe45cf4b819c5991fe208aaa96edf142730f1d)"
	.section	".note.GNU-stack","",@progbits
	.addrsig
	.addrsig_sym __hip_cuid_85a0e433410bf2e
	.amdgpu_metadata
---
amdhsa.kernels:
  - .args:
      - .actual_access:  read_only
        .address_space:  global
        .offset:         0
        .size:           8
        .value_kind:     global_buffer
      - .offset:         8
        .size:           8
        .value_kind:     by_value
      - .actual_access:  read_only
        .address_space:  global
        .offset:         16
        .size:           8
        .value_kind:     global_buffer
      - .actual_access:  read_only
        .address_space:  global
        .offset:         24
        .size:           8
        .value_kind:     global_buffer
      - .actual_access:  read_only
        .address_space:  global
        .offset:         32
        .size:           8
        .value_kind:     global_buffer
      - .offset:         40
        .size:           8
        .value_kind:     by_value
      - .actual_access:  read_only
        .address_space:  global
        .offset:         48
        .size:           8
        .value_kind:     global_buffer
      - .actual_access:  read_only
        .address_space:  global
        .offset:         56
        .size:           8
        .value_kind:     global_buffer
      - .offset:         64
        .size:           4
        .value_kind:     by_value
      - .actual_access:  read_only
        .address_space:  global
        .offset:         72
        .size:           8
        .value_kind:     global_buffer
      - .actual_access:  read_only
        .address_space:  global
        .offset:         80
        .size:           8
        .value_kind:     global_buffer
      - .actual_access:  read_only
        .address_space:  global
        .offset:         88
        .size:           8
        .value_kind:     global_buffer
      - .actual_access:  write_only
        .address_space:  global
        .offset:         96
        .size:           8
        .value_kind:     global_buffer
    .group_segment_fixed_size: 0
    .kernarg_segment_align: 8
    .kernarg_segment_size: 104
    .language:       OpenCL C
    .language_version:
      - 2
      - 0
    .max_flat_workgroup_size: 182
    .name:           fft_rtc_back_len1183_factors_7_13_13_wgs_182_tpt_91_halfLds_sp_op_CI_CI_sbrr_dirReg
    .private_segment_fixed_size: 0
    .sgpr_count:     45
    .sgpr_spill_count: 0
    .symbol:         fft_rtc_back_len1183_factors_7_13_13_wgs_182_tpt_91_halfLds_sp_op_CI_CI_sbrr_dirReg.kd
    .uniform_work_group_size: 1
    .uses_dynamic_stack: false
    .vgpr_count:     178
    .vgpr_spill_count: 0
    .wavefront_size: 32
    .workgroup_processor_mode: 1
amdhsa.target:   amdgcn-amd-amdhsa--gfx1201
amdhsa.version:
  - 1
  - 2
...

	.end_amdgpu_metadata
